;; amdgpu-corpus repo=ROCm/rocFFT kind=compiled arch=gfx1201 opt=O3
	.text
	.amdgcn_target "amdgcn-amd-amdhsa--gfx1201"
	.amdhsa_code_object_version 6
	.protected	bluestein_single_fwd_len442_dim1_dp_op_CI_CI ; -- Begin function bluestein_single_fwd_len442_dim1_dp_op_CI_CI
	.globl	bluestein_single_fwd_len442_dim1_dp_op_CI_CI
	.p2align	8
	.type	bluestein_single_fwd_len442_dim1_dp_op_CI_CI,@function
bluestein_single_fwd_len442_dim1_dp_op_CI_CI: ; @bluestein_single_fwd_len442_dim1_dp_op_CI_CI
; %bb.0:
	s_load_b128 s[4:7], s[0:1], 0x28
	v_mul_u32_u24_e32 v1, 0x788, v0
	s_mov_b32 s2, exec_lo
	s_delay_alu instid0(VALU_DEP_1) | instskip(NEXT) | instid1(VALU_DEP_1)
	v_lshrrev_b32_e32 v1, 16, v1
	v_mad_co_u64_u32 v[4:5], null, ttmp9, 7, v[1:2]
	v_mov_b32_e32 v5, 0
                                        ; kill: def $vgpr2 killed $sgpr0 killed $exec
	s_wait_kmcnt 0x0
	s_delay_alu instid0(VALU_DEP_1)
	v_cmpx_gt_u64_e64 s[4:5], v[4:5]
	s_cbranch_execz .LBB0_23
; %bb.1:
	v_mul_hi_u32 v2, 0x24924925, v4
	v_mul_lo_u16 v1, v1, 34
	s_clause 0x1
	s_load_b64 s[12:13], s[0:1], 0x0
	s_load_b64 s[14:15], s[0:1], 0x38
	s_delay_alu instid0(VALU_DEP_1) | instskip(SKIP_1) | instid1(VALU_DEP_4)
	v_sub_nc_u16 v0, v0, v1
	v_mov_b32_e32 v1, v4
	v_sub_nc_u32_e32 v3, v4, v2
	s_delay_alu instid0(VALU_DEP_3) | instskip(SKIP_1) | instid1(VALU_DEP_3)
	v_and_b32_e32 v255, 0xffff, v0
	v_cmp_gt_u16_e32 vcc_lo, 26, v0
	v_lshrrev_b32_e32 v3, 1, v3
	s_delay_alu instid0(VALU_DEP_3) | instskip(NEXT) | instid1(VALU_DEP_2)
	v_lshlrev_b32_e32 v0, 4, v255
	v_add_nc_u32_e32 v2, v3, v2
	scratch_store_b32 off, v0, off offset:60 ; 4-byte Folded Spill
	v_lshrrev_b32_e32 v2, 2, v2
	s_delay_alu instid0(VALU_DEP_1) | instskip(SKIP_2) | instid1(VALU_DEP_1)
	v_mul_lo_u32 v2, v2, 7
	scratch_store_b64 off, v[1:2], off offset:52 ; 8-byte Folded Spill
	v_sub_nc_u32_e32 v1, v4, v2
	v_mul_u32_u24_e32 v211, 0x1ba, v1
	s_delay_alu instid0(VALU_DEP_1)
	v_lshlrev_b32_e32 v0, 4, v211
	scratch_store_b32 off, v0, off          ; 4-byte Folded Spill
	v_or_b32_e32 v0, 0x1a0, v255
	scratch_store_b32 off, v0, off offset:368 ; 4-byte Folded Spill
	s_and_saveexec_b32 s3, vcc_lo
	s_cbranch_execz .LBB0_3
; %bb.2:
	scratch_load_b64 v[0:1], off, off offset:52 ; 8-byte Folded Reload
	s_load_b64 s[4:5], s[0:1], 0x18
	v_or_b32_e32 v66, 0x1a0, v255
	s_wait_kmcnt 0x0
	s_load_b128 s[8:11], s[4:5], 0x0
	s_wait_kmcnt 0x0
	v_mad_co_u64_u32 v[60:61], null, s8, v255, 0
	v_mad_co_u64_u32 v[62:63], null, s8, v66, 0
	s_mul_u64 s[4:5], s[8:9], 0x1a0
	s_wait_loadcnt 0x0
	s_delay_alu instid0(VALU_DEP_2) | instskip(NEXT) | instid1(VALU_DEP_1)
	v_dual_mov_b32 v33, v61 :: v_dual_mov_b32 v34, v0
	v_mad_co_u64_u32 v[56:57], null, s10, v34, 0
	s_delay_alu instid0(VALU_DEP_2) | instskip(NEXT) | instid1(VALU_DEP_1)
	v_mad_co_u64_u32 v[58:59], null, s9, v255, v[33:34]
	v_dual_mov_b32 v32, v57 :: v_dual_mov_b32 v61, v58
	s_delay_alu instid0(VALU_DEP_1) | instskip(SKIP_1) | instid1(VALU_DEP_3)
	v_mad_co_u64_u32 v[48:49], null, s11, v34, v[32:33]
	v_lshlrev_b32_e32 v156, 4, v255
	v_lshlrev_b64_e32 v[60:61], 4, v[60:61]
	s_delay_alu instid0(VALU_DEP_3)
	v_mov_b32_e32 v57, v48
	s_clause 0xb
	global_load_b128 v[0:3], v156, s[12:13]
	global_load_b128 v[4:7], v156, s[12:13] offset:416
	global_load_b128 v[8:11], v156, s[12:13] offset:832
	;; [unrolled: 1-line block ×11, first 2 shown]
	v_lshlrev_b64_e32 v[64:65], 4, v[56:57]
	s_clause 0x2
	global_load_b128 v[48:51], v156, s[12:13] offset:4992
	global_load_b128 v[52:55], v156, s[12:13] offset:5408
	;; [unrolled: 1-line block ×3, first 2 shown]
	v_mad_co_u64_u32 v[66:67], null, s9, v66, v[63:64]
	v_add_co_u32 v67, s2, s6, v64
	s_delay_alu instid0(VALU_DEP_1) | instskip(NEXT) | instid1(VALU_DEP_2)
	v_add_co_ci_u32_e64 v70, s2, s7, v65, s2
	v_add_co_u32 v64, s2, v67, v60
	s_wait_alu 0xf1ff
	s_delay_alu instid0(VALU_DEP_2)
	v_add_co_ci_u32_e64 v65, s2, v70, v61, s2
	v_mov_b32_e32 v63, v66
	s_wait_alu 0xfffe
	v_add_co_u32 v68, s2, v64, s4
	s_wait_alu 0xf1ff
	v_add_co_ci_u32_e64 v69, s2, s5, v65, s2
	v_lshlrev_b64_e32 v[60:61], 4, v[62:63]
	s_delay_alu instid0(VALU_DEP_3) | instskip(SKIP_1) | instid1(VALU_DEP_3)
	v_add_co_u32 v72, s2, v68, s4
	s_wait_alu 0xf1ff
	v_add_co_ci_u32_e64 v73, s2, s5, v69, s2
	s_delay_alu instid0(VALU_DEP_3)
	v_add_co_u32 v60, s2, v67, v60
	s_wait_alu 0xf1ff
	v_add_co_ci_u32_e64 v61, s2, v70, v61, s2
	v_add_co_u32 v76, s2, v72, s4
	s_wait_alu 0xf1ff
	v_add_co_ci_u32_e64 v77, s2, s5, v73, s2
	global_load_b128 v[60:63], v[60:61], off
	v_add_co_u32 v80, s2, v76, s4
	s_wait_alu 0xf1ff
	v_add_co_ci_u32_e64 v81, s2, s5, v77, s2
	s_clause 0x1
	global_load_b128 v[64:67], v[64:65], off
	global_load_b128 v[68:71], v[68:69], off
	v_add_co_u32 v84, s2, v80, s4
	s_wait_alu 0xf1ff
	v_add_co_ci_u32_e64 v85, s2, s5, v81, s2
	s_clause 0x1
	global_load_b128 v[72:75], v[72:73], off
	global_load_b128 v[76:79], v[76:77], off
	v_add_co_u32 v88, s2, v84, s4
	s_wait_alu 0xf1ff
	v_add_co_ci_u32_e64 v89, s2, s5, v85, s2
	global_load_b128 v[80:83], v[80:81], off
	v_add_co_u32 v92, s2, v88, s4
	s_wait_alu 0xf1ff
	v_add_co_ci_u32_e64 v93, s2, s5, v89, s2
	;; [unrolled: 4-line block ×10, first 2 shown]
	global_load_b128 v[116:119], v[116:117], off
	global_load_b128 v[120:123], v[120:121], off
	s_clause 0x1
	global_load_b128 v[124:127], v156, s[12:13] offset:5824
	global_load_b128 v[128:131], v156, s[12:13] offset:6240
	global_load_b128 v[132:135], v[132:133], off
	s_wait_loadcnt 0x12
	v_mul_f64_e32 v[138:139], v[62:63], v[58:59]
	v_mul_f64_e32 v[171:172], v[60:61], v[58:59]
	s_wait_loadcnt 0x11
	v_mul_f64_e32 v[136:137], v[66:67], v[2:3]
	v_mul_f64_e32 v[2:3], v[64:65], v[2:3]
	;; [unrolled: 3-line block ×11, first 2 shown]
	v_fma_f64 v[64:65], v[64:65], v[0:1], v[136:137]
	v_fma_f64 v[66:67], v[66:67], v[0:1], -v[2:3]
	v_fma_f64 v[0:1], v[60:61], v[56:57], v[138:139]
	s_wait_loadcnt 0x7
	v_mul_f64_e32 v[159:160], v[106:107], v[42:43]
	v_mul_f64_e32 v[42:43], v[104:105], v[42:43]
	v_fma_f64 v[58:59], v[68:69], v[4:5], v[140:141]
	v_fma_f64 v[60:61], v[70:71], v[4:5], -v[6:7]
	v_fma_f64 v[4:5], v[72:73], v[8:9], v[142:143]
	s_wait_loadcnt 0x6
	v_mul_f64_e32 v[161:162], v[110:111], v[46:47]
	v_mul_f64_e32 v[46:47], v[108:109], v[46:47]
	v_fma_f64 v[6:7], v[74:75], v[8:9], -v[10:11]
	v_fma_f64 v[8:9], v[76:77], v[12:13], v[144:145]
	v_fma_f64 v[10:11], v[78:79], v[12:13], -v[14:15]
	s_wait_loadcnt 0x5
	v_mul_f64_e32 v[163:164], v[114:115], v[50:51]
	v_mul_f64_e32 v[50:51], v[112:113], v[50:51]
	s_wait_loadcnt 0x4
	v_mul_f64_e32 v[165:166], v[118:119], v[54:55]
	v_mul_f64_e32 v[54:55], v[116:117], v[54:55]
	s_wait_loadcnt 0x2
	v_mul_f64_e32 v[167:168], v[122:123], v[126:127]
	v_mul_f64_e32 v[126:127], v[120:121], v[126:127]
	s_wait_loadcnt 0x0
	v_mul_f64_e32 v[169:170], v[134:135], v[130:131]
	v_mul_f64_e32 v[130:131], v[132:133], v[130:131]
	v_fma_f64 v[12:13], v[80:81], v[16:17], v[146:147]
	v_fma_f64 v[14:15], v[82:83], v[16:17], -v[18:19]
	v_fma_f64 v[16:17], v[84:85], v[20:21], v[148:149]
	v_fma_f64 v[18:19], v[86:87], v[20:21], -v[22:23]
	;; [unrolled: 2-line block ×4, first 2 shown]
	v_fma_f64 v[2:3], v[62:63], v[56:57], -v[171:172]
	v_lshlrev_b32_e32 v57, 4, v211
	v_fma_f64 v[28:29], v[96:97], v[32:33], v[154:155]
	v_fma_f64 v[30:31], v[98:99], v[32:33], -v[34:35]
	s_delay_alu instid0(VALU_DEP_3)
	v_lshl_add_u32 v56, v255, 4, v57
	v_fma_f64 v[32:33], v[100:101], v[36:37], v[157:158]
	v_fma_f64 v[34:35], v[102:103], v[36:37], -v[38:39]
	v_add_nc_u32_e32 v57, v57, v156
	v_fma_f64 v[36:37], v[104:105], v[40:41], v[159:160]
	v_fma_f64 v[38:39], v[106:107], v[40:41], -v[42:43]
	v_fma_f64 v[40:41], v[108:109], v[44:45], v[161:162]
	v_fma_f64 v[42:43], v[110:111], v[44:45], -v[46:47]
	;; [unrolled: 2-line block ×6, first 2 shown]
	ds_store_b128 v56, v[64:67]
	ds_store_b128 v57, v[58:61] offset:416
	ds_store_b128 v57, v[4:7] offset:832
	;; [unrolled: 1-line block ×16, first 2 shown]
.LBB0_3:
	s_or_b32 exec_lo, exec_lo, s3
	global_wb scope:SCOPE_SE
	s_wait_storecnt_dscnt 0x0
	s_wait_kmcnt 0x0
	s_barrier_signal -1
	s_barrier_wait -1
	global_inv scope:SCOPE_SE
                                        ; implicit-def: $vgpr12_vgpr13
                                        ; implicit-def: $vgpr36_vgpr37
                                        ; implicit-def: $vgpr40_vgpr41
                                        ; implicit-def: $vgpr44_vgpr45
                                        ; implicit-def: $vgpr48_vgpr49
                                        ; implicit-def: $vgpr52_vgpr53
                                        ; implicit-def: $vgpr56_vgpr57
                                        ; implicit-def: $vgpr60_vgpr61
                                        ; implicit-def: $vgpr68_vgpr69
                                        ; implicit-def: $vgpr72_vgpr73
                                        ; implicit-def: $vgpr76_vgpr77
                                        ; implicit-def: $vgpr80_vgpr81
                                        ; implicit-def: $vgpr84_vgpr85
                                        ; implicit-def: $vgpr64_vgpr65
                                        ; implicit-def: $vgpr32_vgpr33
                                        ; implicit-def: $vgpr28_vgpr29
                                        ; implicit-def: $vgpr24_vgpr25
	s_and_saveexec_b32 s2, vcc_lo
	s_cbranch_execz .LBB0_5
; %bb.4:
	v_lshlrev_b32_e32 v0, 4, v255
	s_delay_alu instid0(VALU_DEP_1)
	v_lshl_add_u32 v0, v211, 4, v0
	ds_load_b128 v[12:15], v0
	ds_load_b128 v[36:39], v0 offset:416
	ds_load_b128 v[40:43], v0 offset:832
	;; [unrolled: 1-line block ×16, first 2 shown]
.LBB0_5:
	s_wait_alu 0xfffe
	s_or_b32 exec_lo, exec_lo, s2
	s_wait_dscnt 0x0
	v_add_f64_e64 v[163:164], v[38:39], -v[26:27]
	v_add_f64_e64 v[102:103], v[42:43], -v[30:31]
	s_mov_b32 s4, 0x5d8e7cdc
	s_mov_b32 s10, 0x2a9d6da3
	;; [unrolled: 1-line block ×4, first 2 shown]
	v_add_f64_e32 v[157:158], v[36:37], v[24:25]
	v_add_f64_e64 v[100:101], v[40:41], -v[28:29]
	s_mov_b32 s6, 0x370991
	s_mov_b32 s7, 0x3fedd6d0
	v_add_f64_e32 v[88:89], v[40:41], v[28:29]
	s_mov_b32 s8, 0x75d4884
	s_mov_b32 s9, 0x3fe7a5f6
	v_add_f64_e64 v[183:184], v[36:37], -v[24:25]
	v_add_f64_e32 v[179:180], v[38:39], v[26:27]
	v_add_f64_e32 v[96:97], v[42:43], v[30:31]
	v_add_f64_e64 v[114:115], v[46:47], -v[34:35]
	s_mov_b32 s20, 0x7c9e640b
	s_mov_b32 s21, 0xbfeca52d
	v_add_f64_e32 v[92:93], v[44:45], v[32:33]
	s_mov_b32 s18, 0x2b2883cd
	s_mov_b32 s19, 0x3fdc86fa
	v_add_f64_e64 v[112:113], v[44:45], -v[32:33]
	v_add_f64_e32 v[108:109], v[46:47], v[34:35]
	v_add_f64_e64 v[124:125], v[50:51], -v[66:67]
	s_mov_b32 s24, 0xeb564b22
	s_mov_b32 s25, 0xbfefdd0d
	v_add_f64_e32 v[104:105], v[48:49], v[64:65]
	s_mov_b32 s22, 0x3259b75e
	s_mov_b32 s23, 0x3fb79ee6
	v_add_f64_e64 v[126:127], v[48:49], -v[64:65]
	v_add_f64_e32 v[120:121], v[50:51], v[66:67]
	v_add_f64_e64 v[136:137], v[54:55], -v[86:87]
	s_mov_b32 s28, 0x923c349f
	s_mov_b32 s29, 0xbfeec746
	v_add_f64_e32 v[116:117], v[52:53], v[84:85]
	s_mov_b32 s26, 0xc61f0d01
	s_mov_b32 s27, 0xbfd183b1
	s_wait_alu 0xfffe
	v_mul_f64_e32 v[0:1], s[4:5], v[163:164]
	v_mul_f64_e32 v[2:3], s[10:11], v[102:103]
	v_add_f64_e64 v[142:143], v[52:53], -v[84:85]
	v_add_f64_e32 v[132:133], v[54:55], v[86:87]
	v_add_f64_e64 v[169:170], v[58:59], -v[82:83]
	s_mov_b32 s56, 0x6c9a05f6
	s_mov_b32 s57, 0xbfe9895b
	v_mul_f64_e32 v[4:5], s[10:11], v[100:101]
	v_add_f64_e32 v[128:129], v[56:57], v[80:81]
	s_mov_b32 s30, 0x6ed5f1bb
	s_mov_b32 s31, 0xbfe348c8
	v_add_f64_e64 v[161:162], v[56:57], -v[80:81]
	v_add_f64_e32 v[144:145], v[58:59], v[82:83]
	v_add_f64_e64 v[173:174], v[62:63], -v[78:79]
	s_mov_b32 s38, 0x4363dd80
	s_mov_b32 s39, 0x3fe0d888
	;; [unrolled: 1-line block ×4, first 2 shown]
	v_add_f64_e32 v[138:139], v[60:61], v[76:77]
	s_mov_b32 s34, 0x910ea3b9
	s_mov_b32 s35, 0xbfeb34fa
	v_add_f64_e64 v[171:172], v[60:61], -v[76:77]
	v_add_f64_e32 v[152:153], v[62:63], v[78:79]
	v_add_f64_e64 v[177:178], v[70:71], -v[74:75]
	s_mov_b32 s40, 0xacd6c6b4
	s_mov_b32 s41, 0xbfc7851a
	v_add_f64_e32 v[148:149], v[68:69], v[72:73]
	s_mov_b32 s36, 0x7faef3
	s_mov_b32 s37, 0xbfef7484
	v_add_f64_e64 v[175:176], v[68:69], -v[72:73]
	v_add_f64_e32 v[165:166], v[70:71], v[74:75]
	v_mul_f64_e32 v[195:196], s[10:11], v[163:164]
	v_mul_f64_e32 v[197:198], s[10:11], v[183:184]
	s_mov_b32 s53, 0x3feec746
	s_mov_b32 s52, s28
	;; [unrolled: 1-line block ×6, first 2 shown]
	s_clause 0x1
	scratch_store_b64 off, v[2:3], off offset:64
	scratch_store_b64 off, v[0:1], off offset:248
	v_fma_f64 v[0:1], v[157:158], s[6:7], v[0:1]
	v_fma_f64 v[2:3], v[88:89], s[8:9], v[2:3]
	v_mul_f64_e32 v[217:218], s[38:39], v[142:143]
	v_mul_f64_e32 v[215:216], s[52:53], v[169:170]
	scratch_store_b64 off, v[4:5], off offset:88 ; 8-byte Folded Spill
	v_fma_f64 v[4:5], v[96:97], s[8:9], -v[4:5]
	v_mul_f64_e32 v[199:200], s[20:21], v[163:164]
	v_mul_f64_e32 v[201:202], s[20:21], v[183:184]
	;; [unrolled: 1-line block ×3, first 2 shown]
	s_mov_b32 s49, 0x3fc7851a
	s_mov_b32 s48, s40
	v_mul_f64_e32 v[239:240], s[52:53], v[126:127]
	v_mul_f64_e32 v[223:224], s[48:49], v[112:113]
	s_mov_b32 s51, 0x3fe58eea
	s_mov_b32 s50, s10
	v_mul_f64_e32 v[253:254], s[4:5], v[169:170]
	v_mul_f64_e32 v[235:236], s[50:51], v[136:137]
	;; [unrolled: 1-line block ×20, first 2 shown]
	s_mov_b32 s55, 0x3fe9895b
	s_mov_b32 s54, s56
	v_mul_f64_e32 v[249:250], s[50:51], v[177:178]
	v_add_f64_e32 v[0:1], v[12:13], v[0:1]
	v_mul_f64_e32 v[94:95], s[54:55], v[173:174]
	v_mul_f64_e32 v[122:123], s[54:55], v[171:172]
	;; [unrolled: 1-line block ×13, first 2 shown]
	s_mov_b32 s59, 0x3fefdd0d
	s_mov_b32 s58, s24
	v_mul_f64_e32 v[140:141], s[4:5], v[173:174]
	v_mul_f64_e32 v[187:188], s[58:59], v[169:170]
	;; [unrolled: 1-line block ×4, first 2 shown]
	v_fma_f64 v[20:21], v[96:97], s[36:37], -v[233:234]
	v_add_f64_e32 v[0:1], v[2:3], v[0:1]
	v_mul_f64_e32 v[2:3], s[4:5], v[183:184]
	v_fma_f64 v[130:131], v[96:97], s[34:35], -v[90:91]
	scratch_store_b64 off, v[2:3], off offset:264 ; 8-byte Folded Spill
	v_fma_f64 v[2:3], v[179:180], s[6:7], -v[2:3]
	s_delay_alu instid0(VALU_DEP_1) | instskip(NEXT) | instid1(VALU_DEP_1)
	v_add_f64_e32 v[2:3], v[14:15], v[2:3]
	v_add_f64_e32 v[2:3], v[4:5], v[2:3]
	v_mul_f64_e32 v[4:5], s[20:21], v[114:115]
	scratch_store_b64 off, v[4:5], off offset:72 ; 8-byte Folded Spill
	v_fma_f64 v[4:5], v[92:93], s[18:19], v[4:5]
	s_delay_alu instid0(VALU_DEP_1) | instskip(SKIP_3) | instid1(VALU_DEP_1)
	v_add_f64_e32 v[0:1], v[4:5], v[0:1]
	v_mul_f64_e32 v[4:5], s[20:21], v[112:113]
	scratch_store_b64 off, v[4:5], off offset:120 ; 8-byte Folded Spill
	v_fma_f64 v[4:5], v[108:109], s[18:19], -v[4:5]
	v_add_f64_e32 v[2:3], v[4:5], v[2:3]
	v_mul_f64_e32 v[4:5], s[24:25], v[124:125]
	scratch_store_b64 off, v[4:5], off offset:104 ; 8-byte Folded Spill
	v_fma_f64 v[4:5], v[104:105], s[22:23], v[4:5]
	s_delay_alu instid0(VALU_DEP_1) | instskip(SKIP_3) | instid1(VALU_DEP_1)
	v_add_f64_e32 v[0:1], v[4:5], v[0:1]
	v_mul_f64_e32 v[4:5], s[24:25], v[126:127]
	scratch_store_b64 off, v[4:5], off offset:152 ; 8-byte Folded Spill
	v_fma_f64 v[4:5], v[120:121], s[22:23], -v[4:5]
	;; [unrolled: 9-line block ×6, first 2 shown]
	v_add_f64_e32 v[2:3], v[4:5], v[2:3]
	v_fma_f64 v[4:5], v[157:158], s[8:9], v[195:196]
	scratch_store_b128 off, v[0:3], off offset:4 ; 16-byte Folded Spill
	v_mul_f64_e32 v[0:1], s[24:25], v[102:103]
	v_add_f64_e32 v[4:5], v[12:13], v[4:5]
	s_delay_alu instid0(VALU_DEP_2)
	v_fma_f64 v[6:7], v[88:89], s[22:23], v[0:1]
	scratch_store_b64 off, v[0:1], off offset:272 ; 8-byte Folded Spill
	v_mul_f64_e32 v[0:1], s[24:25], v[100:101]
	v_add_f64_e32 v[4:5], v[6:7], v[4:5]
	v_fma_f64 v[6:7], v[179:180], s[8:9], -v[197:198]
	scratch_store_b64 off, v[0:1], off offset:312 ; 8-byte Folded Spill
	v_fma_f64 v[8:9], v[96:97], s[22:23], -v[0:1]
	v_mul_f64_e32 v[0:1], s[56:57], v[114:115]
	v_add_f64_e32 v[6:7], v[14:15], v[6:7]
	scratch_store_b64 off, v[0:1], off offset:280 ; 8-byte Folded Spill
	v_add_f64_e32 v[6:7], v[8:9], v[6:7]
	v_fma_f64 v[8:9], v[92:93], s[30:31], v[0:1]
	v_mul_f64_e32 v[0:1], s[56:57], v[112:113]
	s_delay_alu instid0(VALU_DEP_2) | instskip(SKIP_3) | instid1(VALU_DEP_2)
	v_add_f64_e32 v[4:5], v[8:9], v[4:5]
	scratch_store_b64 off, v[0:1], off offset:328 ; 8-byte Folded Spill
	v_fma_f64 v[8:9], v[108:109], s[30:31], -v[0:1]
	v_mul_f64_e32 v[0:1], s[40:41], v[124:125]
	v_add_f64_e32 v[6:7], v[8:9], v[6:7]
	scratch_store_b64 off, v[0:1], off offset:296 ; 8-byte Folded Spill
	v_fma_f64 v[8:9], v[104:105], s[36:37], v[0:1]
	v_mul_f64_e32 v[0:1], s[40:41], v[126:127]
	s_delay_alu instid0(VALU_DEP_2) | instskip(SKIP_3) | instid1(VALU_DEP_2)
	v_add_f64_e32 v[4:5], v[8:9], v[4:5]
	scratch_store_b64 off, v[0:1], off offset:360 ; 8-byte Folded Spill
	v_fma_f64 v[8:9], v[120:121], s[36:37], -v[0:1]
	v_mul_f64_e32 v[0:1], s[38:39], v[136:137]
	v_add_f64_e32 v[6:7], v[8:9], v[6:7]
	s_delay_alu instid0(VALU_DEP_2)
	v_fma_f64 v[8:9], v[116:117], s[34:35], v[0:1]
	scratch_store_b64 off, v[0:1], off offset:336 ; 8-byte Folded Spill
	v_mul_f64_e32 v[0:1], s[46:47], v[173:174]
	v_add_f64_e32 v[4:5], v[8:9], v[4:5]
	v_fma_f64 v[8:9], v[132:133], s[34:35], -v[217:218]
	scratch_store_b64 off, v[0:1], off offset:344 ; 8-byte Folded Spill
	v_add_f64_e32 v[6:7], v[8:9], v[6:7]
	v_fma_f64 v[8:9], v[128:129], s[26:27], v[215:216]
	s_delay_alu instid0(VALU_DEP_1) | instskip(SKIP_1) | instid1(VALU_DEP_1)
	v_add_f64_e32 v[4:5], v[8:9], v[4:5]
	v_fma_f64 v[8:9], v[144:145], s[26:27], -v[237:238]
	v_add_f64_e32 v[6:7], v[8:9], v[6:7]
	v_fma_f64 v[8:9], v[138:139], s[18:19], v[0:1]
	v_mul_f64_e32 v[0:1], s[46:47], v[171:172]
	s_delay_alu instid0(VALU_DEP_2) | instskip(SKIP_3) | instid1(VALU_DEP_2)
	v_add_f64_e32 v[4:5], v[8:9], v[4:5]
	scratch_store_b64 off, v[0:1], off offset:388 ; 8-byte Folded Spill
	v_fma_f64 v[8:9], v[152:153], s[18:19], -v[0:1]
	v_mul_f64_e32 v[0:1], s[44:45], v[177:178]
	v_add_f64_e32 v[6:7], v[8:9], v[6:7]
	s_delay_alu instid0(VALU_DEP_2) | instskip(SKIP_4) | instid1(VALU_DEP_2)
	v_fma_f64 v[8:9], v[148:149], s[6:7], v[0:1]
	scratch_store_b64 off, v[0:1], off offset:352 ; 8-byte Folded Spill
	v_add_f64_e32 v[0:1], v[8:9], v[4:5]
	v_fma_f64 v[8:9], v[165:166], s[6:7], -v[219:220]
	v_mul_f64_e32 v[4:5], s[56:57], v[102:103]
	v_add_f64_e32 v[2:3], v[8:9], v[6:7]
	v_fma_f64 v[8:9], v[157:158], s[18:19], v[199:200]
	s_delay_alu instid0(VALU_DEP_3) | instskip(SKIP_4) | instid1(VALU_DEP_2)
	v_fma_f64 v[10:11], v[88:89], s[30:31], v[4:5]
	v_mul_f64_e32 v[6:7], s[48:49], v[114:115]
	scratch_store_b128 off, v[0:3], off offset:20 ; 16-byte Folded Spill
	v_add_f64_e32 v[8:9], v[12:13], v[8:9]
	v_mul_f64_e32 v[0:1], s[56:57], v[100:101]
	v_add_f64_e32 v[8:9], v[10:11], v[8:9]
	v_fma_f64 v[10:11], v[179:180], s[18:19], -v[201:202]
	s_delay_alu instid0(VALU_DEP_3)
	v_fma_f64 v[16:17], v[96:97], s[30:31], -v[0:1]
	scratch_store_b64 off, v[0:1], off offset:396 ; 8-byte Folded Spill
	v_mul_f64_e32 v[0:1], s[52:53], v[124:125]
	v_add_f64_e32 v[10:11], v[14:15], v[10:11]
	scratch_store_b64 off, v[0:1], off offset:372 ; 8-byte Folded Spill
	v_add_f64_e32 v[10:11], v[16:17], v[10:11]
	v_fma_f64 v[16:17], v[92:93], s[36:37], v[6:7]
	s_delay_alu instid0(VALU_DEP_1) | instskip(SKIP_1) | instid1(VALU_DEP_1)
	v_add_f64_e32 v[8:9], v[16:17], v[8:9]
	v_fma_f64 v[16:17], v[108:109], s[36:37], -v[223:224]
	v_add_f64_e32 v[10:11], v[16:17], v[10:11]
	v_fma_f64 v[16:17], v[104:105], s[26:27], v[0:1]
	s_delay_alu instid0(VALU_DEP_1) | instskip(SKIP_1) | instid1(VALU_DEP_1)
	v_add_f64_e32 v[8:9], v[16:17], v[8:9]
	v_fma_f64 v[16:17], v[120:121], s[26:27], -v[239:240]
	;; [unrolled: 5-line block ×6, first 2 shown]
	v_add_f64_e32 v[2:3], v[16:17], v[10:11]
	v_fma_f64 v[16:17], v[157:158], s[22:23], v[203:204]
	scratch_store_b128 off, v[0:3], off offset:36 ; 16-byte Folded Spill
	v_mul_f64_e32 v[2:3], s[40:41], v[102:103]
	v_add_f64_e32 v[16:17], v[12:13], v[16:17]
	s_clause 0x1
	s_load_b64 s[16:17], s[0:1], 0x20
	s_load_b64 s[2:3], s[0:1], 0x8
	global_wb scope:SCOPE_SE
	s_wait_storecnt 0x0
	s_wait_kmcnt 0x0
	s_barrier_signal -1
	s_barrier_wait -1
	global_inv scope:SCOPE_SE
	v_fma_f64 v[18:19], v[88:89], s[36:37], v[2:3]
	s_delay_alu instid0(VALU_DEP_1) | instskip(SKIP_1) | instid1(VALU_DEP_1)
	v_add_f64_e32 v[16:17], v[18:19], v[16:17]
	v_fma_f64 v[18:19], v[179:180], s[22:23], -v[205:206]
	v_add_f64_e32 v[18:19], v[14:15], v[18:19]
	s_delay_alu instid0(VALU_DEP_1) | instskip(SKIP_1) | instid1(VALU_DEP_1)
	v_add_f64_e32 v[18:19], v[20:21], v[18:19]
	v_fma_f64 v[20:21], v[92:93], s[26:27], v[225:226]
	v_add_f64_e32 v[16:17], v[20:21], v[16:17]
	v_fma_f64 v[20:21], v[108:109], s[26:27], -v[251:252]
	s_delay_alu instid0(VALU_DEP_1) | instskip(SKIP_1) | instid1(VALU_DEP_1)
	v_add_f64_e32 v[18:19], v[20:21], v[18:19]
	v_fma_f64 v[20:21], v[104:105], s[6:7], v[231:232]
	v_add_f64_e32 v[16:17], v[20:21], v[16:17]
	v_fma_f64 v[20:21], v[120:121], s[6:7], -v[118:119]
	;; [unrolled: 5-line block ×6, first 2 shown]
	s_delay_alu instid0(VALU_DEP_1) | instskip(SKIP_2) | instid1(VALU_DEP_2)
	v_add_f64_e32 v[22:23], v[16:17], v[18:19]
	v_fma_f64 v[16:17], v[157:158], s[26:27], v[207:208]
	v_fma_f64 v[18:19], v[88:89], s[34:35], v[229:230]
	v_add_f64_e32 v[16:17], v[12:13], v[16:17]
	s_delay_alu instid0(VALU_DEP_1) | instskip(SKIP_1) | instid1(VALU_DEP_1)
	v_add_f64_e32 v[16:17], v[18:19], v[16:17]
	v_fma_f64 v[18:19], v[179:180], s[26:27], -v[209:210]
	v_add_f64_e32 v[18:19], v[14:15], v[18:19]
	s_delay_alu instid0(VALU_DEP_1) | instskip(SKIP_1) | instid1(VALU_DEP_1)
	v_add_f64_e32 v[18:19], v[130:131], v[18:19]
	v_fma_f64 v[130:131], v[92:93], s[8:9], v[245:246]
	v_add_f64_e32 v[16:17], v[130:131], v[16:17]
	v_fma_f64 v[130:131], v[108:109], s[8:9], -v[134:135]
	s_delay_alu instid0(VALU_DEP_1) | instskip(SKIP_1) | instid1(VALU_DEP_1)
	v_add_f64_e32 v[18:19], v[130:131], v[18:19]
	v_fma_f64 v[130:131], v[104:105], s[18:19], v[247:248]
	v_add_f64_e32 v[16:17], v[130:131], v[16:17]
	v_fma_f64 v[130:131], v[120:121], s[18:19], -v[181:182]
	;; [unrolled: 5-line block ×5, first 2 shown]
	s_delay_alu instid0(VALU_DEP_1) | instskip(SKIP_1) | instid1(VALU_DEP_1)
	v_add_f64_e32 v[18:19], v[130:131], v[18:19]
	v_mul_f64_e32 v[130:131], s[56:57], v[177:178]
	v_fma_f64 v[167:168], v[148:149], s[30:31], v[130:131]
	s_delay_alu instid0(VALU_DEP_1) | instskip(SKIP_1) | instid1(VALU_DEP_1)
	v_add_f64_e32 v[16:17], v[167:168], v[16:17]
	v_mul_f64_e32 v[167:168], s[56:57], v[175:176]
	v_fma_f64 v[212:213], v[165:166], s[30:31], -v[167:168]
	s_delay_alu instid0(VALU_DEP_1)
	v_add_f64_e32 v[18:19], v[212:213], v[18:19]
	s_and_saveexec_b32 s0, vcc_lo
	s_cbranch_execz .LBB0_7
; %bb.6:
	scratch_load_b64 v[0:1], off, off offset:264 th:TH_LOAD_LU ; 8-byte Folded Reload
	v_add_f64_e32 v[36:37], v[12:13], v[36:37]
	v_add_f64_e32 v[38:39], v[14:15], v[38:39]
	v_mul_f64_e32 v[212:213], s[30:31], v[92:93]
	s_delay_alu instid0(VALU_DEP_3) | instskip(NEXT) | instid1(VALU_DEP_3)
	v_add_f64_e32 v[36:37], v[36:37], v[40:41]
	v_add_f64_e32 v[38:39], v[38:39], v[42:43]
	v_mul_f64_e32 v[40:41], s[26:27], v[179:180]
	v_mul_f64_e32 v[42:43], s[26:27], v[157:158]
	s_delay_alu instid0(VALU_DEP_4) | instskip(NEXT) | instid1(VALU_DEP_4)
	v_add_f64_e32 v[36:37], v[36:37], v[44:45]
	v_add_f64_e32 v[38:39], v[38:39], v[46:47]
	v_mul_f64_e32 v[46:47], s[22:23], v[157:158]
	v_add_f64_e32 v[40:41], v[209:210], v[40:41]
	v_add_f64_e64 v[42:43], v[42:43], -v[207:208]
	v_mul_f64_e32 v[44:45], s[22:23], v[179:180]
	v_mul_f64_e32 v[207:208], s[34:35], v[116:117]
	;; [unrolled: 1-line block ×3, first 2 shown]
	v_add_f64_e32 v[36:37], v[36:37], v[48:49]
	v_add_f64_e32 v[38:39], v[38:39], v[50:51]
	v_mul_f64_e32 v[48:49], s[18:19], v[179:180]
	v_mul_f64_e32 v[50:51], s[18:19], v[157:158]
	v_add_f64_e64 v[46:47], v[46:47], -v[203:204]
	v_add_f64_e32 v[44:45], v[205:206], v[44:45]
	v_mul_f64_e32 v[203:204], s[22:23], v[96:97]
	v_mul_f64_e32 v[205:206], s[26:27], v[128:129]
	v_add_f64_e32 v[36:37], v[36:37], v[52:53]
	v_add_f64_e32 v[38:39], v[38:39], v[54:55]
	v_mul_f64_e32 v[54:55], s[8:9], v[157:158]
	v_add_f64_e32 v[48:49], v[201:202], v[48:49]
	v_add_f64_e64 v[50:51], v[50:51], -v[199:200]
	v_mul_f64_e32 v[52:53], s[8:9], v[179:180]
	v_add_f64_e32 v[46:47], v[12:13], v[46:47]
	v_add_f64_e32 v[44:45], v[14:15], v[44:45]
	v_mul_f64_e32 v[199:200], s[26:27], v[165:166]
	v_mul_f64_e32 v[201:202], s[28:29], v[177:178]
	v_add_f64_e64 v[205:206], v[205:206], -v[215:216]
	v_add_f64_e32 v[36:37], v[36:37], v[56:57]
	v_mul_f64_e32 v[56:57], s[6:7], v[179:180]
	v_add_f64_e32 v[38:39], v[38:39], v[58:59]
	v_mul_f64_e32 v[58:59], s[40:41], v[163:164]
	v_add_f64_e64 v[54:55], v[54:55], -v[195:196]
	v_add_f64_e32 v[52:53], v[197:198], v[52:53]
	v_mul_f64_e32 v[195:196], s[58:59], v[177:178]
	v_mul_f64_e32 v[197:198], s[50:51], v[173:174]
	v_add_f64_e32 v[36:37], v[36:37], v[60:61]
	v_mul_f64_e32 v[60:61], s[42:43], v[163:164]
	v_add_f64_e32 v[38:39], v[38:39], v[62:63]
	v_mul_f64_e32 v[62:63], s[56:57], v[163:164]
	s_delay_alu instid0(VALU_DEP_4) | instskip(NEXT) | instid1(VALU_DEP_3)
	v_add_f64_e32 v[36:37], v[36:37], v[68:69]
	v_add_f64_e32 v[38:39], v[38:39], v[70:71]
	v_mul_f64_e32 v[70:71], s[6:7], v[157:158]
	s_delay_alu instid0(VALU_DEP_4) | instskip(SKIP_3) | instid1(VALU_DEP_4)
	v_fma_f64 v[68:69], v[157:158], s[30:31], v[62:63]
	v_fma_f64 v[62:63], v[157:158], s[30:31], -v[62:63]
	v_add_f64_e32 v[36:37], v[36:37], v[72:73]
	v_add_f64_e32 v[38:39], v[38:39], v[74:75]
	;; [unrolled: 1-line block ×3, first 2 shown]
	s_delay_alu instid0(VALU_DEP_4)
	v_add_f64_e32 v[62:63], v[12:13], v[62:63]
	s_wait_loadcnt 0x0
	v_add_f64_e32 v[56:57], v[0:1], v[56:57]
	scratch_load_b64 v[0:1], off, off offset:248 th:TH_LOAD_LU ; 8-byte Folded Reload
	v_add_f64_e32 v[36:37], v[36:37], v[76:77]
	v_add_f64_e32 v[38:39], v[38:39], v[78:79]
	;; [unrolled: 1-line block ×4, first 2 shown]
	v_mul_f64_e32 v[48:49], s[34:35], v[108:109]
	v_add_f64_e32 v[36:37], v[36:37], v[80:81]
	v_add_f64_e32 v[80:81], v[12:13], v[42:43]
	;; [unrolled: 1-line block ×5, first 2 shown]
	v_fma_f64 v[50:51], v[112:113], s[38:39], v[48:49]
	v_add_f64_e32 v[36:37], v[36:37], v[84:85]
	v_add_f64_e32 v[38:39], v[38:39], v[86:87]
	s_delay_alu instid0(VALU_DEP_2) | instskip(SKIP_1) | instid1(VALU_DEP_3)
	v_add_f64_e32 v[36:37], v[36:37], v[64:65]
	v_fma_f64 v[64:65], v[157:158], s[36:37], v[58:59]
	v_add_f64_e32 v[38:39], v[38:39], v[66:67]
	v_fma_f64 v[58:59], v[157:158], s[36:37], -v[58:59]
	v_fma_f64 v[66:67], v[157:158], s[34:35], v[60:61]
	v_fma_f64 v[60:61], v[157:158], s[34:35], -v[60:61]
	v_add_f64_e32 v[32:33], v[36:37], v[32:33]
	v_mul_f64_e32 v[36:37], s[30:31], v[179:180]
	v_add_f64_e32 v[34:35], v[38:39], v[34:35]
	v_add_f64_e32 v[64:65], v[12:13], v[64:65]
	;; [unrolled: 1-line block ×6, first 2 shown]
	v_mul_f64_e32 v[32:33], s[34:35], v[179:180]
	v_add_f64_e32 v[30:31], v[34:35], v[30:31]
	v_fma_f64 v[38:39], v[183:184], s[54:55], v[36:37]
	v_fma_f64 v[36:37], v[183:184], s[56:57], v[36:37]
	v_add_f64_e32 v[24:25], v[28:29], v[24:25]
	v_mul_f64_e32 v[28:29], s[36:37], v[179:180]
	v_fma_f64 v[34:35], v[183:184], s[38:39], v[32:33]
	v_fma_f64 v[32:33], v[183:184], s[42:43], v[32:33]
	v_add_f64_e32 v[26:27], v[30:31], v[26:27]
	v_add_f64_e32 v[74:75], v[14:15], v[38:39]
	;; [unrolled: 1-line block ×5, first 2 shown]
	v_fma_f64 v[30:31], v[183:184], s[48:49], v[28:29]
	v_fma_f64 v[28:29], v[183:184], s[40:41], v[28:29]
	v_add_f64_e32 v[72:73], v[14:15], v[32:33]
	v_mul_f64_e32 v[32:33], s[6:7], v[96:97]
	v_add_f64_e32 v[34:35], v[14:15], v[34:35]
	v_mul_f64_e32 v[183:184], s[22:23], v[165:166]
	s_wait_loadcnt 0x0
	v_add_f64_e64 v[70:71], v[70:71], -v[0:1]
	scratch_load_b64 v[0:1], off, off offset:360 th:TH_LOAD_LU ; 8-byte Folded Reload
	v_add_f64_e32 v[30:31], v[14:15], v[30:31]
	v_add_f64_e32 v[28:29], v[14:15], v[28:29]
	;; [unrolled: 1-line block ×3, first 2 shown]
	v_fma_f64 v[12:13], v[100:101], s[4:5], v[32:33]
	v_fma_f64 v[32:33], v[100:101], s[44:45], v[32:33]
	s_delay_alu instid0(VALU_DEP_2) | instskip(SKIP_1) | instid1(VALU_DEP_3)
	v_add_f64_e32 v[12:13], v[12:13], v[30:31]
	v_mul_f64_e32 v[30:31], s[44:45], v[102:103]
	v_add_f64_e32 v[28:29], v[32:33], v[28:29]
	v_fma_f64 v[32:33], v[112:113], s[42:43], v[48:49]
	v_fma_f64 v[48:49], v[148:149], s[22:23], -v[195:196]
	v_add_f64_e32 v[12:13], v[50:51], v[12:13]
	v_fma_f64 v[14:15], v[88:89], s[6:7], v[30:31]
	v_mul_f64_e32 v[50:51], s[42:43], v[114:115]
	v_fma_f64 v[30:31], v[88:89], s[6:7], -v[30:31]
	v_add_f64_e32 v[28:29], v[32:33], v[28:29]
	s_delay_alu instid0(VALU_DEP_4) | instskip(NEXT) | instid1(VALU_DEP_4)
	v_add_f64_e32 v[14:15], v[14:15], v[64:65]
	v_fma_f64 v[52:53], v[92:93], s[34:35], v[50:51]
	s_delay_alu instid0(VALU_DEP_4)
	v_add_f64_e32 v[30:31], v[30:31], v[58:59]
	v_fma_f64 v[32:33], v[92:93], s[34:35], -v[50:51]
	v_mul_f64_e32 v[58:59], s[46:47], v[102:103]
	v_mul_f64_e32 v[50:51], s[34:35], v[132:133]
	v_add_f64_e32 v[14:15], v[52:53], v[14:15]
	v_mul_f64_e32 v[52:53], s[8:9], v[120:121]
	v_add_f64_e32 v[30:31], v[32:33], v[30:31]
	s_delay_alu instid0(VALU_DEP_4) | instskip(NEXT) | instid1(VALU_DEP_3)
	v_add_f64_e32 v[50:51], v[217:218], v[50:51]
	v_fma_f64 v[54:55], v[126:127], s[10:11], v[52:53]
	v_fma_f64 v[32:33], v[126:127], s[50:51], v[52:53]
	v_mul_f64_e32 v[52:53], s[36:37], v[120:121]
	s_delay_alu instid0(VALU_DEP_3) | instskip(SKIP_1) | instid1(VALU_DEP_4)
	v_add_f64_e32 v[12:13], v[54:55], v[12:13]
	v_mul_f64_e32 v[54:55], s[50:51], v[124:125]
	v_add_f64_e32 v[28:29], v[32:33], v[28:29]
	s_delay_alu instid0(VALU_DEP_2)
	v_fma_f64 v[56:57], v[104:105], s[8:9], v[54:55]
	v_fma_f64 v[32:33], v[104:105], s[8:9], -v[54:55]
	v_mul_f64_e32 v[54:55], s[30:31], v[108:109]
	s_wait_loadcnt 0x0
	v_add_f64_e32 v[52:53], v[0:1], v[52:53]
	scratch_load_b64 v[0:1], off, off offset:328 th:TH_LOAD_LU ; 8-byte Folded Reload
	v_add_f64_e32 v[14:15], v[56:57], v[14:15]
	v_mul_f64_e32 v[56:57], s[30:31], v[132:133]
	v_add_f64_e32 v[30:31], v[32:33], v[30:31]
	s_delay_alu instid0(VALU_DEP_2) | instskip(SKIP_2) | instid1(VALU_DEP_3)
	v_fma_f64 v[64:65], v[142:143], s[54:55], v[56:57]
	v_fma_f64 v[32:33], v[142:143], s[56:57], v[56:57]
	v_mul_f64_e32 v[56:57], s[18:19], v[96:97]
	v_add_f64_e32 v[12:13], v[64:65], v[12:13]
	v_mul_f64_e32 v[64:65], s[56:57], v[136:137]
	s_delay_alu instid0(VALU_DEP_4) | instskip(NEXT) | instid1(VALU_DEP_2)
	v_add_f64_e32 v[28:29], v[32:33], v[28:29]
	v_fma_f64 v[84:85], v[116:117], s[30:31], v[64:65]
	v_fma_f64 v[32:33], v[116:117], s[30:31], -v[64:65]
	v_mul_f64_e32 v[64:65], s[22:23], v[108:109]
	s_delay_alu instid0(VALU_DEP_3) | instskip(SKIP_1) | instid1(VALU_DEP_4)
	v_add_f64_e32 v[14:15], v[84:85], v[14:15]
	v_mul_f64_e32 v[84:85], s[18:19], v[144:145]
	v_add_f64_e32 v[30:31], v[32:33], v[30:31]
	s_delay_alu instid0(VALU_DEP_2) | instskip(SKIP_2) | instid1(VALU_DEP_3)
	v_fma_f64 v[86:87], v[161:162], s[20:21], v[84:85]
	v_fma_f64 v[32:33], v[161:162], s[46:47], v[84:85]
	v_mul_f64_e32 v[84:85], s[30:31], v[120:121]
	v_add_f64_e32 v[12:13], v[86:87], v[12:13]
	v_mul_f64_e32 v[86:87], s[46:47], v[169:170]
	s_delay_alu instid0(VALU_DEP_4) | instskip(NEXT) | instid1(VALU_DEP_2)
	v_add_f64_e32 v[28:29], v[32:33], v[28:29]
	v_fma_f64 v[157:158], v[128:129], s[18:19], v[86:87]
	v_fma_f64 v[32:33], v[128:129], s[18:19], -v[86:87]
	v_mul_f64_e32 v[86:87], s[54:55], v[124:125]
	s_wait_loadcnt 0x0
	v_add_f64_e32 v[54:55], v[0:1], v[54:55]
	scratch_load_b64 v[0:1], off, off offset:312 th:TH_LOAD_LU ; 8-byte Folded Reload
	v_add_f64_e32 v[14:15], v[157:158], v[14:15]
	v_mul_f64_e32 v[157:158], s[26:27], v[152:153]
	v_add_f64_e32 v[30:31], v[32:33], v[30:31]
	s_delay_alu instid0(VALU_DEP_2) | instskip(SKIP_2) | instid1(VALU_DEP_3)
	v_fma_f64 v[163:164], v[171:172], s[52:53], v[157:158]
	v_fma_f64 v[32:33], v[171:172], s[28:29], v[157:158]
	v_mul_f64_e32 v[157:158], s[6:7], v[132:133]
	v_add_f64_e32 v[12:13], v[163:164], v[12:13]
	v_mul_f64_e32 v[163:164], s[28:29], v[173:174]
	s_delay_alu instid0(VALU_DEP_4) | instskip(NEXT) | instid1(VALU_DEP_2)
	v_add_f64_e32 v[28:29], v[32:33], v[28:29]
	v_fma_f64 v[32:33], v[138:139], s[26:27], -v[163:164]
	v_fma_f64 v[179:180], v[138:139], s[26:27], v[163:164]
	v_mul_f64_e32 v[163:164], s[4:5], v[136:137]
	s_delay_alu instid0(VALU_DEP_3) | instskip(SKIP_1) | instid1(VALU_DEP_4)
	v_add_f64_e32 v[32:33], v[32:33], v[30:31]
	v_fma_f64 v[30:31], v[175:176], s[58:59], v[183:184]
	v_add_f64_e32 v[179:180], v[179:180], v[14:15]
	v_fma_f64 v[14:15], v[175:176], s[24:25], v[183:184]
	v_mul_f64_e32 v[183:184], s[40:41], v[169:170]
	s_delay_alu instid0(VALU_DEP_4)
	v_add_f64_e32 v[30:31], v[30:31], v[28:29]
	v_add_f64_e32 v[28:29], v[48:49], v[32:33]
	v_fma_f64 v[32:33], v[100:101], s[20:21], v[56:57]
	v_fma_f64 v[48:49], v[112:113], s[58:59], v[64:65]
	v_add_f64_e32 v[14:15], v[14:15], v[12:13]
	v_fma_f64 v[12:13], v[148:149], s[22:23], v[195:196]
	v_mul_f64_e32 v[195:196], s[8:9], v[152:153]
	v_fma_f64 v[56:57], v[100:101], s[46:47], v[56:57]
	v_add_f64_e32 v[32:33], v[32:33], v[34:35]
	v_fma_f64 v[34:35], v[88:89], s[18:19], v[58:59]
	v_fma_f64 v[58:59], v[88:89], s[18:19], -v[58:59]
	v_add_f64_e32 v[12:13], v[12:13], v[179:180]
	v_mul_f64_e32 v[179:180], s[36:37], v[144:145]
	v_add_f64_e32 v[56:57], v[56:57], v[72:73]
	v_add_f64_e32 v[32:33], v[48:49], v[32:33]
	;; [unrolled: 1-line block ×3, first 2 shown]
	v_mul_f64_e32 v[66:67], s[24:25], v[114:115]
	v_add_f64_e32 v[58:59], v[58:59], v[60:61]
	v_fma_f64 v[60:61], v[112:113], s[24:25], v[64:65]
	v_fma_f64 v[64:65], v[148:149], s[26:27], -v[201:202]
	s_wait_loadcnt 0x0
	v_add_f64_e32 v[203:204], v[0:1], v[203:204]
	scratch_load_b64 v[0:1], off, off offset:336 th:TH_LOAD_LU ; 8-byte Folded Reload
	v_fma_f64 v[48:49], v[92:93], s[22:23], v[66:67]
	v_add_f64_e32 v[56:57], v[60:61], v[56:57]
	v_fma_f64 v[60:61], v[92:93], s[22:23], -v[66:67]
	v_add_f64_e32 v[36:37], v[203:204], v[36:37]
	v_mul_f64_e32 v[203:204], s[36:37], v[104:105]
	v_add_f64_e32 v[34:35], v[48:49], v[34:35]
	v_fma_f64 v[48:49], v[126:127], s[56:57], v[84:85]
	v_add_f64_e32 v[58:59], v[60:61], v[58:59]
	v_fma_f64 v[60:61], v[126:127], s[54:55], v[84:85]
	v_add_f64_e32 v[36:37], v[54:55], v[36:37]
	v_mul_f64_e32 v[54:55], s[18:19], v[152:153]
	v_add_f64_e32 v[32:33], v[48:49], v[32:33]
	v_fma_f64 v[48:49], v[104:105], s[30:31], v[86:87]
	v_add_f64_e32 v[56:57], v[60:61], v[56:57]
	v_fma_f64 v[60:61], v[104:105], s[30:31], -v[86:87]
	v_add_f64_e32 v[36:37], v[52:53], v[36:37]
	v_mul_f64_e32 v[52:53], s[18:19], v[138:139]
	v_add_f64_e32 v[34:35], v[48:49], v[34:35]
	v_fma_f64 v[48:49], v[142:143], s[44:45], v[157:158]
	v_add_f64_e32 v[58:59], v[60:61], v[58:59]
	v_fma_f64 v[60:61], v[142:143], s[4:5], v[157:158]
	v_add_f64_e32 v[36:37], v[50:51], v[36:37]
	v_mul_f64_e32 v[50:51], s[6:7], v[165:166]
	v_add_f64_e32 v[32:33], v[48:49], v[32:33]
	v_fma_f64 v[48:49], v[116:117], s[6:7], v[163:164]
	v_add_f64_e32 v[56:57], v[60:61], v[56:57]
	v_fma_f64 v[60:61], v[116:117], s[6:7], -v[163:164]
	v_add_f64_e32 v[50:51], v[219:220], v[50:51]
	s_delay_alu instid0(VALU_DEP_4) | instskip(SKIP_1) | instid1(VALU_DEP_4)
	v_add_f64_e32 v[34:35], v[48:49], v[34:35]
	v_fma_f64 v[48:49], v[161:162], s[48:49], v[179:180]
	v_add_f64_e32 v[58:59], v[60:61], v[58:59]
	v_fma_f64 v[60:61], v[161:162], s[40:41], v[179:180]
	s_delay_alu instid0(VALU_DEP_3) | instskip(SKIP_1) | instid1(VALU_DEP_3)
	v_add_f64_e32 v[32:33], v[48:49], v[32:33]
	v_fma_f64 v[48:49], v[128:129], s[36:37], v[183:184]
	v_add_f64_e32 v[56:57], v[60:61], v[56:57]
	v_fma_f64 v[60:61], v[128:129], s[36:37], -v[183:184]
	s_delay_alu instid0(VALU_DEP_3) | instskip(SKIP_1) | instid1(VALU_DEP_3)
	v_add_f64_e32 v[34:35], v[48:49], v[34:35]
	v_fma_f64 v[48:49], v[171:172], s[10:11], v[195:196]
	v_add_f64_e32 v[58:59], v[60:61], v[58:59]
	v_fma_f64 v[60:61], v[171:172], s[50:51], v[195:196]
	s_delay_alu instid0(VALU_DEP_3) | instskip(SKIP_1) | instid1(VALU_DEP_3)
	v_add_f64_e32 v[32:33], v[48:49], v[32:33]
	v_fma_f64 v[48:49], v[138:139], s[8:9], v[197:198]
	v_add_f64_e32 v[56:57], v[60:61], v[56:57]
	v_fma_f64 v[60:61], v[138:139], s[8:9], -v[197:198]
	s_wait_loadcnt 0x0
	v_add_f64_e64 v[207:208], v[207:208], -v[0:1]
	scratch_load_b64 v[0:1], off, off offset:272 th:TH_LOAD_LU ; 8-byte Folded Reload
	v_add_f64_e32 v[48:49], v[48:49], v[34:35]
	v_fma_f64 v[34:35], v[175:176], s[52:53], v[199:200]
	v_add_f64_e32 v[60:61], v[60:61], v[58:59]
	v_fma_f64 v[58:59], v[175:176], s[28:29], v[199:200]
	s_delay_alu instid0(VALU_DEP_3) | instskip(SKIP_1) | instid1(VALU_DEP_3)
	v_add_f64_e32 v[34:35], v[34:35], v[32:33]
	v_fma_f64 v[32:33], v[148:149], s[26:27], v[201:202]
	v_add_f64_e32 v[58:59], v[58:59], v[56:57]
	v_add_f64_e32 v[56:57], v[64:65], v[60:61]
	s_delay_alu instid0(VALU_DEP_3) | instskip(SKIP_1) | instid1(VALU_DEP_1)
	v_add_f64_e32 v[32:33], v[32:33], v[48:49]
	v_mul_f64_e32 v[48:49], s[26:27], v[144:145]
	v_add_f64_e32 v[48:49], v[237:238], v[48:49]
	s_delay_alu instid0(VALU_DEP_1)
	v_add_f64_e32 v[36:37], v[48:49], v[36:37]
	v_mul_f64_e32 v[48:49], s[6:7], v[148:149]
	s_wait_loadcnt 0x0
	v_add_f64_e64 v[209:210], v[209:210], -v[0:1]
	scratch_load_b64 v[0:1], off, off offset:280 th:TH_LOAD_LU ; 8-byte Folded Reload
	v_add_f64_e32 v[38:39], v[209:210], v[38:39]
	s_wait_loadcnt 0x0
	v_add_f64_e64 v[212:213], v[212:213], -v[0:1]
	scratch_load_b64 v[0:1], off, off offset:296 th:TH_LOAD_LU ; 8-byte Folded Reload
	v_add_f64_e32 v[38:39], v[212:213], v[38:39]
	;; [unrolled: 4-line block ×3, first 2 shown]
	v_mul_f64_e32 v[203:204], s[8:9], v[116:117]
	s_delay_alu instid0(VALU_DEP_2) | instskip(SKIP_1) | instid1(VALU_DEP_3)
	v_add_f64_e32 v[38:39], v[207:208], v[38:39]
	v_mul_f64_e32 v[207:208], s[36:37], v[92:93]
	v_add_f64_e64 v[203:204], v[203:204], -v[235:236]
	s_delay_alu instid0(VALU_DEP_3) | instskip(SKIP_1) | instid1(VALU_DEP_4)
	v_add_f64_e32 v[38:39], v[205:206], v[38:39]
	v_mul_f64_e32 v[205:206], s[30:31], v[88:89]
	v_add_f64_e64 v[207:208], v[207:208], -v[6:7]
	s_delay_alu instid0(VALU_DEP_2) | instskip(NEXT) | instid1(VALU_DEP_1)
	v_add_f64_e64 v[205:206], v[205:206], -v[4:5]
	v_add_f64_e32 v[42:43], v[205:206], v[42:43]
	s_delay_alu instid0(VALU_DEP_1)
	v_add_f64_e32 v[42:43], v[207:208], v[42:43]
	s_wait_loadcnt 0x0
	v_add_f64_e32 v[54:55], v[0:1], v[54:55]
	scratch_load_b64 v[0:1], off, off offset:344 th:TH_LOAD_LU ; 8-byte Folded Reload
	v_add_f64_e32 v[36:37], v[54:55], v[36:37]
	v_mul_f64_e32 v[54:55], s[36:37], v[108:109]
	s_delay_alu instid0(VALU_DEP_1)
	v_add_f64_e32 v[54:55], v[223:224], v[54:55]
	s_wait_loadcnt 0x0
	v_add_f64_e64 v[52:53], v[52:53], -v[0:1]
	scratch_load_b64 v[0:1], off, off offset:352 th:TH_LOAD_LU ; 8-byte Folded Reload
	v_add_f64_e32 v[52:53], v[52:53], v[38:39]
	v_add_f64_e32 v[38:39], v[50:51], v[36:37]
	v_mul_f64_e32 v[50:51], s[8:9], v[132:133]
	s_delay_alu instid0(VALU_DEP_1)
	v_add_f64_e32 v[50:51], v[106:107], v[50:51]
	v_mul_f64_e32 v[106:107], s[30:31], v[96:97]
	s_wait_loadcnt 0x0
	v_add_f64_e64 v[48:49], v[48:49], -v[0:1]
	scratch_load_b64 v[0:1], off, off offset:396 th:TH_LOAD_LU ; 8-byte Folded Reload
	v_add_f64_e32 v[36:37], v[48:49], v[52:53]
	v_mul_f64_e32 v[52:53], s[26:27], v[120:121]
	v_mul_f64_e32 v[48:49], s[6:7], v[144:145]
	s_delay_alu instid0(VALU_DEP_2) | instskip(NEXT) | instid1(VALU_DEP_2)
	v_add_f64_e32 v[52:53], v[239:240], v[52:53]
	v_add_f64_e32 v[48:49], v[154:155], v[48:49]
	v_mul_f64_e32 v[154:155], s[6:7], v[128:129]
	s_delay_alu instid0(VALU_DEP_1)
	v_add_f64_e64 v[154:155], v[154:155], -v[253:254]
	s_wait_loadcnt 0x0
	v_add_f64_e32 v[106:107], v[0:1], v[106:107]
	scratch_load_b64 v[0:1], off, off offset:372 th:TH_LOAD_LU ; 8-byte Folded Reload
	v_add_f64_e32 v[40:41], v[106:107], v[40:41]
	v_mul_f64_e32 v[106:107], s[26:27], v[104:105]
	s_delay_alu instid0(VALU_DEP_2) | instskip(SKIP_1) | instid1(VALU_DEP_2)
	v_add_f64_e32 v[40:41], v[54:55], v[40:41]
	v_mul_f64_e32 v[54:55], s[22:23], v[152:153]
	v_add_f64_e32 v[40:41], v[52:53], v[40:41]
	v_mul_f64_e32 v[52:53], s[22:23], v[138:139]
	s_delay_alu instid0(VALU_DEP_3) | instskip(NEXT) | instid1(VALU_DEP_3)
	v_add_f64_e32 v[54:55], v[241:242], v[54:55]
	v_add_f64_e32 v[40:41], v[50:51], v[40:41]
	s_delay_alu instid0(VALU_DEP_3) | instskip(SKIP_1) | instid1(VALU_DEP_3)
	v_add_f64_e64 v[52:53], v[52:53], -v[227:228]
	v_mul_f64_e32 v[50:51], s[34:35], v[165:166]
	v_add_f64_e32 v[40:41], v[48:49], v[40:41]
	v_mul_f64_e32 v[48:49], s[34:35], v[148:149]
	s_delay_alu instid0(VALU_DEP_3) | instskip(NEXT) | instid1(VALU_DEP_3)
	v_add_f64_e32 v[50:51], v[243:244], v[50:51]
	v_add_f64_e32 v[40:41], v[54:55], v[40:41]
	s_delay_alu instid0(VALU_DEP_3) | instskip(SKIP_1) | instid1(VALU_DEP_1)
	v_add_f64_e64 v[48:49], v[48:49], -v[221:222]
	v_mul_f64_e32 v[54:55], s[26:27], v[108:109]
	v_add_f64_e32 v[54:55], v[251:252], v[54:55]
	s_wait_loadcnt 0x0
	v_add_f64_e64 v[106:107], v[106:107], -v[0:1]
	scratch_load_b64 v[0:1], off, off offset:216 th:TH_LOAD_LU ; 8-byte Folded Reload
	v_add_f64_e32 v[42:43], v[106:107], v[42:43]
	v_mul_f64_e32 v[106:107], s[36:37], v[96:97]
	s_delay_alu instid0(VALU_DEP_2) | instskip(NEXT) | instid1(VALU_DEP_2)
	v_add_f64_e32 v[42:43], v[203:204], v[42:43]
	v_add_f64_e32 v[106:107], v[233:234], v[106:107]
	s_delay_alu instid0(VALU_DEP_2) | instskip(SKIP_1) | instid1(VALU_DEP_3)
	v_add_f64_e32 v[42:43], v[154:155], v[42:43]
	v_mul_f64_e32 v[154:155], s[26:27], v[92:93]
	v_add_f64_e32 v[44:45], v[106:107], v[44:45]
	v_mul_f64_e32 v[106:107], s[6:7], v[104:105]
	s_delay_alu instid0(VALU_DEP_4)
	v_add_f64_e32 v[52:53], v[52:53], v[42:43]
	v_add_f64_e32 v[42:43], v[50:51], v[40:41]
	v_add_f64_e64 v[154:155], v[154:155], -v[225:226]
	v_mul_f64_e32 v[50:51], s[18:19], v[132:133]
	v_add_f64_e64 v[106:107], v[106:107], -v[231:232]
	v_add_f64_e32 v[44:45], v[54:55], v[44:45]
	v_mul_f64_e32 v[54:55], s[30:31], v[152:153]
	v_add_f64_e32 v[40:41], v[48:49], v[52:53]
	v_mul_f64_e32 v[52:53], s[6:7], v[120:121]
	v_mul_f64_e32 v[48:49], s[34:35], v[144:145]
	v_add_f64_e32 v[50:51], v[159:160], v[50:51]
	v_add_f64_e32 v[54:55], v[122:123], v[54:55]
	s_delay_alu instid0(VALU_DEP_4) | instskip(SKIP_2) | instid1(VALU_DEP_3)
	v_add_f64_e32 v[52:53], v[118:119], v[52:53]
	v_mul_f64_e32 v[118:119], s[34:35], v[128:129]
	v_add_f64_e32 v[48:49], v[189:190], v[48:49]
	v_add_f64_e32 v[44:45], v[52:53], v[44:45]
	s_delay_alu instid0(VALU_DEP_3) | instskip(SKIP_2) | instid1(VALU_DEP_4)
	v_add_f64_e64 v[118:119], v[118:119], -v[146:147]
	v_mul_f64_e32 v[146:147], s[18:19], v[116:117]
	v_mul_f64_e32 v[52:53], s[30:31], v[138:139]
	v_add_f64_e32 v[44:45], v[50:51], v[44:45]
	v_mul_f64_e32 v[50:51], s[8:9], v[165:166]
	s_delay_alu instid0(VALU_DEP_4)
	v_add_f64_e64 v[98:99], v[146:147], -v[98:99]
	v_mul_f64_e32 v[146:147], s[36:37], v[88:89]
	v_add_f64_e64 v[52:53], v[52:53], -v[94:95]
	v_mul_f64_e32 v[94:95], s[34:35], v[96:97]
	v_add_f64_e32 v[44:45], v[48:49], v[44:45]
	v_mul_f64_e32 v[48:49], s[8:9], v[148:149]
	v_add_f64_e32 v[50:51], v[110:111], v[50:51]
	v_add_f64_e64 v[146:147], v[146:147], -v[2:3]
	v_mul_f64_e32 v[110:111], s[8:9], v[92:93]
	v_add_f64_e32 v[90:91], v[90:91], v[94:95]
	v_mul_f64_e32 v[94:95], s[22:23], v[128:129]
	v_add_f64_e32 v[44:45], v[54:55], v[44:45]
	v_add_f64_e64 v[48:49], v[48:49], -v[249:250]
	v_mul_f64_e32 v[54:55], s[8:9], v[108:109]
	v_add_f64_e32 v[46:47], v[146:147], v[46:47]
	v_add_f64_e64 v[110:111], v[110:111], -v[245:246]
	v_add_f64_e32 v[78:79], v[90:91], v[78:79]
	v_mul_f64_e32 v[90:91], s[18:19], v[104:105]
	v_add_f64_e64 v[94:95], v[94:95], -v[187:188]
	v_add_f64_e32 v[54:55], v[134:135], v[54:55]
	v_add_f64_e32 v[46:47], v[154:155], v[46:47]
	s_delay_alu instid0(VALU_DEP_4) | instskip(NEXT) | instid1(VALU_DEP_3)
	v_add_f64_e64 v[90:91], v[90:91], -v[247:248]
	v_add_f64_e32 v[54:55], v[54:55], v[78:79]
	s_delay_alu instid0(VALU_DEP_3) | instskip(SKIP_1) | instid1(VALU_DEP_2)
	v_add_f64_e32 v[46:47], v[106:107], v[46:47]
	v_mul_f64_e32 v[106:107], s[34:35], v[88:89]
	v_add_f64_e32 v[46:47], v[98:99], v[46:47]
	s_delay_alu instid0(VALU_DEP_2) | instskip(SKIP_1) | instid1(VALU_DEP_3)
	v_add_f64_e64 v[106:107], v[106:107], -v[229:230]
	v_mul_f64_e32 v[98:99], s[36:37], v[116:117]
	v_add_f64_e32 v[46:47], v[118:119], v[46:47]
	s_delay_alu instid0(VALU_DEP_3) | instskip(NEXT) | instid1(VALU_DEP_3)
	v_add_f64_e32 v[80:81], v[106:107], v[80:81]
	v_add_f64_e64 v[98:99], v[98:99], -v[150:151]
	s_delay_alu instid0(VALU_DEP_3)
	v_add_f64_e32 v[52:53], v[52:53], v[46:47]
	v_add_f64_e32 v[46:47], v[50:51], v[44:45]
	v_mul_f64_e32 v[50:51], s[36:37], v[132:133]
	v_add_f64_e32 v[78:79], v[110:111], v[80:81]
	v_mul_f64_e32 v[80:81], s[6:7], v[152:153]
	;; [unrolled: 2-line block ×3, first 2 shown]
	v_mul_f64_e32 v[48:49], s[22:23], v[144:145]
	v_add_f64_e32 v[50:51], v[191:192], v[50:51]
	v_add_f64_e32 v[80:81], v[185:186], v[80:81]
	s_delay_alu instid0(VALU_DEP_4) | instskip(NEXT) | instid1(VALU_DEP_4)
	v_add_f64_e32 v[52:53], v[181:182], v[52:53]
	v_add_f64_e32 v[48:49], v[193:194], v[48:49]
	s_delay_alu instid0(VALU_DEP_2) | instskip(SKIP_2) | instid1(VALU_DEP_3)
	v_add_f64_e32 v[52:53], v[52:53], v[54:55]
	v_add_f64_e32 v[54:55], v[90:91], v[78:79]
	v_mul_f64_e32 v[78:79], s[6:7], v[138:139]
	v_add_f64_e32 v[50:51], v[50:51], v[52:53]
	s_delay_alu instid0(VALU_DEP_3) | instskip(NEXT) | instid1(VALU_DEP_3)
	v_add_f64_e32 v[52:53], v[98:99], v[54:55]
	v_add_f64_e64 v[78:79], v[78:79], -v[140:141]
	v_mul_f64_e32 v[54:55], s[30:31], v[165:166]
	s_delay_alu instid0(VALU_DEP_4) | instskip(NEXT) | instid1(VALU_DEP_4)
	v_add_f64_e32 v[48:49], v[48:49], v[50:51]
	v_add_f64_e32 v[50:51], v[94:95], v[52:53]
	v_mul_f64_e32 v[52:53], s[30:31], v[148:149]
	s_delay_alu instid0(VALU_DEP_4) | instskip(NEXT) | instid1(VALU_DEP_4)
	v_add_f64_e32 v[54:55], v[167:168], v[54:55]
	v_add_f64_e32 v[48:49], v[80:81], v[48:49]
	s_delay_alu instid0(VALU_DEP_4) | instskip(NEXT) | instid1(VALU_DEP_4)
	v_add_f64_e32 v[78:79], v[78:79], v[50:51]
	v_add_f64_e64 v[52:53], v[52:53], -v[130:131]
	v_mul_f64_e32 v[130:131], s[18:19], v[165:166]
	s_delay_alu instid0(VALU_DEP_4) | instskip(NEXT) | instid1(VALU_DEP_3)
	v_add_f64_e32 v[50:51], v[54:55], v[48:49]
	v_add_f64_e32 v[48:49], v[52:53], v[78:79]
	v_mul_f64_e32 v[78:79], s[26:27], v[96:97]
	s_delay_alu instid0(VALU_DEP_4) | instskip(NEXT) | instid1(VALU_DEP_2)
	v_fma_f64 v[84:85], v[175:176], s[20:21], v[130:131]
	v_fma_f64 v[52:53], v[100:101], s[52:53], v[78:79]
	;; [unrolled: 1-line block ×3, first 2 shown]
	s_delay_alu instid0(VALU_DEP_2) | instskip(SKIP_1) | instid1(VALU_DEP_3)
	v_add_f64_e32 v[52:53], v[52:53], v[76:77]
	v_mul_f64_e32 v[76:77], s[52:53], v[102:103]
	v_add_f64_e32 v[60:61], v[60:61], v[74:75]
	s_delay_alu instid0(VALU_DEP_2) | instskip(SKIP_2) | instid1(VALU_DEP_3)
	v_fma_f64 v[54:55], v[88:89], s[26:27], -v[76:77]
	v_fma_f64 v[74:75], v[88:89], s[26:27], v[76:77]
	v_mul_f64_e32 v[76:77], s[30:31], v[128:129]
	v_add_f64_e32 v[54:55], v[54:55], v[62:63]
	v_mul_f64_e32 v[62:63], s[6:7], v[108:109]
	s_delay_alu instid0(VALU_DEP_4) | instskip(SKIP_1) | instid1(VALU_DEP_3)
	v_add_f64_e32 v[68:69], v[74:75], v[68:69]
	v_mul_f64_e32 v[74:75], s[8:9], v[96:97]
	v_fma_f64 v[80:81], v[112:113], s[4:5], v[62:63]
	v_fma_f64 v[62:63], v[112:113], s[44:45], v[62:63]
	s_delay_alu instid0(VALU_DEP_2) | instskip(SKIP_1) | instid1(VALU_DEP_3)
	v_add_f64_e32 v[52:53], v[80:81], v[52:53]
	v_mul_f64_e32 v[80:81], s[4:5], v[114:115]
	v_add_f64_e32 v[60:61], v[62:63], v[60:61]
	s_delay_alu instid0(VALU_DEP_2) | instskip(SKIP_2) | instid1(VALU_DEP_3)
	v_fma_f64 v[90:91], v[92:93], s[6:7], -v[80:81]
	v_fma_f64 v[62:63], v[92:93], s[6:7], v[80:81]
	v_mul_f64_e32 v[80:81], s[8:9], v[88:89]
	v_add_f64_e32 v[54:55], v[90:91], v[54:55]
	v_mul_f64_e32 v[90:91], s[34:35], v[120:121]
	s_delay_alu instid0(VALU_DEP_4) | instskip(NEXT) | instid1(VALU_DEP_2)
	v_add_f64_e32 v[62:63], v[62:63], v[68:69]
	v_fma_f64 v[94:95], v[126:127], s[42:43], v[90:91]
	v_fma_f64 v[78:79], v[126:127], s[38:39], v[90:91]
	s_delay_alu instid0(VALU_DEP_2) | instskip(SKIP_1) | instid1(VALU_DEP_3)
	v_add_f64_e32 v[52:53], v[94:95], v[52:53]
	v_mul_f64_e32 v[94:95], s[42:43], v[124:125]
	v_add_f64_e32 v[60:61], v[78:79], v[60:61]
	v_mul_f64_e32 v[124:125], s[46:47], v[177:178]
	v_mul_f64_e32 v[78:79], s[26:27], v[116:117]
	s_delay_alu instid0(VALU_DEP_4) | instskip(SKIP_1) | instid1(VALU_DEP_2)
	v_fma_f64 v[98:99], v[104:105], s[34:35], -v[94:95]
	v_fma_f64 v[68:69], v[104:105], s[34:35], v[94:95]
	v_add_f64_e32 v[54:55], v[98:99], v[54:55]
	v_mul_f64_e32 v[98:99], s[22:23], v[132:133]
	s_delay_alu instid0(VALU_DEP_3) | instskip(NEXT) | instid1(VALU_DEP_2)
	v_add_f64_e32 v[62:63], v[68:69], v[62:63]
	v_fma_f64 v[102:103], v[142:143], s[58:59], v[98:99]
	v_fma_f64 v[72:73], v[142:143], s[24:25], v[98:99]
	s_delay_alu instid0(VALU_DEP_2) | instskip(SKIP_1) | instid1(VALU_DEP_3)
	v_add_f64_e32 v[52:53], v[102:103], v[52:53]
	v_mul_f64_e32 v[102:103], s[58:59], v[136:137]
	v_add_f64_e32 v[60:61], v[72:73], v[60:61]
	v_mul_f64_e32 v[72:73], s[18:19], v[108:109]
	s_delay_alu instid0(VALU_DEP_3) | instskip(SKIP_1) | instid1(VALU_DEP_2)
	v_fma_f64 v[106:107], v[116:117], s[22:23], -v[102:103]
	v_fma_f64 v[68:69], v[116:117], s[22:23], v[102:103]
	v_add_f64_e32 v[54:55], v[106:107], v[54:55]
	v_mul_f64_e32 v[106:107], s[8:9], v[144:145]
	s_delay_alu instid0(VALU_DEP_3) | instskip(SKIP_1) | instid1(VALU_DEP_3)
	v_add_f64_e32 v[62:63], v[68:69], v[62:63]
	v_mul_f64_e32 v[68:69], s[22:23], v[120:121]
	v_fma_f64 v[110:111], v[161:162], s[10:11], v[106:107]
	v_fma_f64 v[66:67], v[161:162], s[50:51], v[106:107]
	s_delay_alu instid0(VALU_DEP_2) | instskip(SKIP_1) | instid1(VALU_DEP_3)
	v_add_f64_e32 v[52:53], v[110:111], v[52:53]
	v_mul_f64_e32 v[110:111], s[10:11], v[169:170]
	v_add_f64_e32 v[60:61], v[66:67], v[60:61]
	s_delay_alu instid0(VALU_DEP_2) | instskip(SKIP_1) | instid1(VALU_DEP_2)
	v_fma_f64 v[114:115], v[128:129], s[8:9], -v[110:111]
	v_fma_f64 v[66:67], v[128:129], s[8:9], v[110:111]
	v_add_f64_e32 v[54:55], v[114:115], v[54:55]
	v_mul_f64_e32 v[114:115], s[36:37], v[152:153]
	s_delay_alu instid0(VALU_DEP_3) | instskip(SKIP_1) | instid1(VALU_DEP_3)
	v_add_f64_e32 v[62:63], v[66:67], v[62:63]
	v_fma_f64 v[66:67], v[148:149], s[18:19], v[124:125]
	v_fma_f64 v[118:119], v[171:172], s[40:41], v[114:115]
	;; [unrolled: 1-line block ×3, first 2 shown]
	s_delay_alu instid0(VALU_DEP_2) | instskip(SKIP_1) | instid1(VALU_DEP_3)
	v_add_f64_e32 v[52:53], v[118:119], v[52:53]
	v_mul_f64_e32 v[118:119], s[40:41], v[173:174]
	v_add_f64_e32 v[60:61], v[64:65], v[60:61]
	s_delay_alu instid0(VALU_DEP_2) | instskip(SKIP_1) | instid1(VALU_DEP_2)
	v_fma_f64 v[64:65], v[138:139], s[36:37], v[118:119]
	v_fma_f64 v[122:123], v[138:139], s[36:37], -v[118:119]
	v_add_f64_e32 v[64:65], v[64:65], v[62:63]
	s_delay_alu instid0(VALU_DEP_4) | instskip(SKIP_1) | instid1(VALU_DEP_4)
	v_add_f64_e32 v[62:63], v[84:85], v[60:61]
	v_mul_f64_e32 v[84:85], s[18:19], v[92:93]
	v_add_f64_e32 v[122:123], v[122:123], v[54:55]
	v_fma_f64 v[54:55], v[175:176], s[46:47], v[130:131]
	v_add_f64_e32 v[60:61], v[66:67], v[64:65]
	v_mul_f64_e32 v[64:65], s[30:31], v[144:145]
	v_mul_f64_e32 v[66:67], s[26:27], v[132:133]
	s_delay_alu instid0(VALU_DEP_4) | instskip(SKIP_2) | instid1(VALU_DEP_4)
	v_add_f64_e32 v[54:55], v[54:55], v[52:53]
	v_fma_f64 v[52:53], v[148:149], s[18:19], -v[124:125]
	s_wait_loadcnt 0x0
	v_add_f64_e32 v[64:65], v[0:1], v[64:65]
	scratch_load_b64 v[0:1], off, off offset:184 th:TH_LOAD_LU ; 8-byte Folded Reload
	v_add_f64_e32 v[52:53], v[52:53], v[122:123]
	s_wait_loadcnt 0x0
	v_add_f64_e32 v[66:67], v[0:1], v[66:67]
	scratch_load_b64 v[0:1], off, off offset:152 th:TH_LOAD_LU ; 8-byte Folded Reload
	s_wait_loadcnt 0x0
	v_add_f64_e32 v[68:69], v[0:1], v[68:69]
	scratch_load_b64 v[0:1], off, off offset:120 th:TH_LOAD_LU ; 8-byte Folded Reload
	;; [unrolled: 3-line block ×4, first 2 shown]
	v_add_f64_e32 v[74:75], v[74:75], v[82:83]
	s_delay_alu instid0(VALU_DEP_1) | instskip(SKIP_1) | instid1(VALU_DEP_2)
	v_add_f64_e32 v[72:73], v[72:73], v[74:75]
	v_mul_f64_e32 v[74:75], s[34:35], v[152:153]
	v_add_f64_e32 v[68:69], v[68:69], v[72:73]
	v_mul_f64_e32 v[72:73], s[34:35], v[138:139]
	s_delay_alu instid0(VALU_DEP_2) | instskip(NEXT) | instid1(VALU_DEP_1)
	v_add_f64_e32 v[66:67], v[66:67], v[68:69]
	v_add_f64_e32 v[64:65], v[64:65], v[66:67]
	s_wait_loadcnt 0x0
	v_add_f64_e64 v[76:77], v[76:77], -v[0:1]
	scratch_load_b64 v[0:1], off, off offset:136 th:TH_LOAD_LU ; 8-byte Folded Reload
	s_wait_loadcnt 0x0
	v_add_f64_e64 v[78:79], v[78:79], -v[0:1]
	scratch_load_b64 v[0:1], off, off offset:64 th:TH_LOAD_LU ; 8-byte Folded Reload
	;; [unrolled: 3-line block ×3, first 2 shown]
	v_add_f64_e32 v[70:71], v[80:81], v[70:71]
	v_mul_f64_e32 v[80:81], s[22:23], v[104:105]
	s_wait_loadcnt 0x0
	v_add_f64_e64 v[84:85], v[84:85], -v[0:1]
	scratch_load_b64 v[0:1], off, off offset:104 th:TH_LOAD_LU ; 8-byte Folded Reload
	v_add_f64_e32 v[70:71], v[84:85], v[70:71]
	s_wait_loadcnt 0x0
	v_add_f64_e64 v[80:81], v[80:81], -v[0:1]
	scratch_load_b64 v[0:1], off, off offset:240 th:TH_LOAD_LU ; 8-byte Folded Reload
	v_add_f64_e32 v[70:71], v[80:81], v[70:71]
	s_delay_alu instid0(VALU_DEP_1) | instskip(SKIP_1) | instid1(VALU_DEP_2)
	v_add_f64_e32 v[68:69], v[78:79], v[70:71]
	v_mul_f64_e32 v[70:71], s[36:37], v[165:166]
	v_add_f64_e32 v[66:67], v[76:77], v[68:69]
	v_mul_f64_e32 v[68:69], s[36:37], v[148:149]
	s_wait_loadcnt 0x0
	v_add_f64_e32 v[74:75], v[0:1], v[74:75]
	scratch_load_b64 v[0:1], off, off offset:200 th:TH_LOAD_LU ; 8-byte Folded Reload
	v_add_f64_e32 v[64:65], v[74:75], v[64:65]
	s_wait_loadcnt 0x0
	v_add_f64_e64 v[72:73], v[72:73], -v[0:1]
	scratch_load_b64 v[0:1], off, off offset:256 th:TH_LOAD_LU ; 8-byte Folded Reload
	v_add_f64_e32 v[72:73], v[72:73], v[66:67]
	s_wait_loadcnt 0x0
	v_add_f64_e32 v[70:71], v[0:1], v[70:71]
	scratch_load_b64 v[0:1], off, off offset:232 th:TH_LOAD_LU ; 8-byte Folded Reload
	v_add_f64_e32 v[66:67], v[70:71], v[64:65]
	s_wait_loadcnt 0x0
	v_add_f64_e64 v[68:69], v[68:69], -v[0:1]
	v_mul_lo_u16 v0, v255, 17
	s_delay_alu instid0(VALU_DEP_1) | instskip(NEXT) | instid1(VALU_DEP_1)
	v_and_b32_e32 v0, 0xffff, v0
	v_add_lshl_u32 v0, v211, v0, 4
	ds_store_b128 v0, v[36:39] offset:32
	ds_store_b128 v0, v[40:43] offset:48
	;; [unrolled: 1-line block ×11, first 2 shown]
	scratch_load_b128 v[1:4], off, off offset:36 ; 16-byte Folded Reload
	v_add_f64_e32 v[64:65], v[68:69], v[72:73]
	s_wait_loadcnt 0x0
	ds_store_b128 v0, v[1:4] offset:224
	scratch_load_b128 v[1:4], off, off offset:20 ; 16-byte Folded Reload
	s_wait_loadcnt 0x0
	ds_store_b128 v0, v[1:4] offset:240
	ds_store_b128 v0, v[60:63] offset:176
	;; [unrolled: 1-line block ×3, first 2 shown]
	ds_store_b128 v0, v[24:27]
	scratch_load_b128 v[1:4], off, off offset:4 ; 16-byte Folded Reload
	s_wait_loadcnt 0x0
	ds_store_b128 v0, v[1:4] offset:256
.LBB0_7:
	s_wait_alu 0xfffe
	s_or_b32 exec_lo, exec_lo, s0
	v_add_lshl_u32 v239, v211, v255, 4
	global_wb scope:SCOPE_SE
	s_wait_dscnt 0x0
	s_barrier_signal -1
	s_barrier_wait -1
	global_inv scope:SCOPE_SE
	ds_load_b128 v[24:27], v239
	ds_load_b128 v[48:51], v239 offset:544
	ds_load_b128 v[76:79], v239 offset:3536
	;; [unrolled: 1-line block ×11, first 2 shown]
	v_cmp_gt_u16_e64 s0, 17, v255
	s_delay_alu instid0(VALU_DEP_1)
	s_and_saveexec_b32 s1, s0
	s_cbranch_execz .LBB0_9
; %bb.8:
	ds_load_b128 v[16:19], v239 offset:3264
	ds_load_b128 v[20:23], v239 offset:6800
.LBB0_9:
	s_wait_alu 0xfffe
	s_or_b32 exec_lo, exec_lo, s1
	v_add_co_u32 v0, s1, 0xffffffef, v255
	s_wait_alu 0xf1ff
	v_add_co_ci_u32_e64 v1, null, 0, -1, s1
	v_add_nc_u16 v2, v255, 0x66
	s_delay_alu instid0(VALU_DEP_3) | instskip(SKIP_1) | instid1(VALU_DEP_4)
	v_cndmask_b32_e64 v100, v0, v255, s0
	v_add_nc_u16 v0, v255, 34
	v_cndmask_b32_e64 v101, v1, 0, s0
	v_add_nc_u16 v1, v255, 0x44
	v_add_nc_u16 v3, v255, 0x88
	;; [unrolled: 1-line block ×3, first 2 shown]
	v_and_b32_e32 v4, 0xff, v0
	v_and_b32_e32 v7, 0xff, v2
	;; [unrolled: 1-line block ×5, first 2 shown]
	v_mul_lo_u16 v4, 0xf1, v4
	v_mul_lo_u16 v7, 0xf1, v7
	;; [unrolled: 1-line block ×5, first 2 shown]
	v_lshrrev_b16 v4, 12, v4
	v_lshrrev_b16 v7, 12, v7
	;; [unrolled: 1-line block ×5, first 2 shown]
	v_mul_lo_u16 v10, v4, 17
	v_lshlrev_b64_e32 v[12:13], 4, v[100:101]
	v_mul_lo_u16 v11, v5, 17
	v_and_b32_e32 v5, 0xffff, v5
	v_mul_lo_u16 v14, v9, 17
	v_sub_nc_u16 v0, v0, v10
	v_mul_lo_u16 v10, v7, 17
	v_sub_nc_u16 v1, v1, v11
	v_mul_lo_u16 v11, v8, 17
	v_sub_nc_u16 v6, v6, v14
	v_and_b32_e32 v15, 0xff, v0
	v_sub_nc_u16 v2, v2, v10
	v_add_co_u32 v12, s1, s2, v12
	v_sub_nc_u16 v3, v3, v11
	v_and_b32_e32 v1, 0xff, v1
	s_wait_alu 0xf1ff
	v_add_co_ci_u32_e64 v13, s1, s3, v13, s1
	v_and_b32_e32 v2, 0xff, v2
	v_lshlrev_b32_e32 v10, 4, v15
	v_and_b32_e32 v3, 0xff, v3
	v_and_b32_e32 v6, 0xff, v6
	v_lshlrev_b32_e32 v11, 4, v1
	s_clause 0x1
	global_load_b128 v[40:43], v[12:13], off
	global_load_b128 v[32:35], v10, s[2:3]
	v_lshlrev_b32_e32 v10, 4, v2
	v_lshlrev_b32_e32 v12, 4, v3
	;; [unrolled: 1-line block ×3, first 2 shown]
	s_clause 0x3
	global_load_b128 v[52:55], v11, s[2:3]
	global_load_b128 v[44:47], v10, s[2:3]
	;; [unrolled: 1-line block ×4, first 2 shown]
	v_add_nc_u16 v10, v255, 0xcc
	v_cmp_lt_u16_e64 s1, 16, v255
	s_load_b128 s[4:7], s[16:17], 0x0
	v_and_b32_e32 v7, 0xffff, v7
	v_and_b32_e32 v8, 0xffff, v8
	;; [unrolled: 1-line block ×4, first 2 shown]
	v_mad_u16 v0, v4, 34, v0
	v_mul_u32_u24_e32 v4, 34, v5
	v_mul_u32_u24_e32 v5, 34, v7
	v_mul_lo_u16 v11, 0xf1, v11
	v_mul_u32_u24_e32 v7, 34, v8
	v_mul_u32_u24_e32 v8, 34, v9
	v_and_b32_e32 v0, 0xff, v0
	v_add_nc_u32_e32 v1, v4, v1
	v_lshrrev_b16 v11, 12, v11
	v_add_nc_u32_e32 v2, v5, v2
	v_add_nc_u32_e32 v3, v7, v3
	;; [unrolled: 1-line block ×3, first 2 shown]
	v_add_lshl_u32 v6, v211, v0, 4
	v_mul_lo_u16 v11, v11, 17
	v_add_lshl_u32 v5, v211, v1, 4
	v_add_lshl_u32 v2, v211, v2, 4
	;; [unrolled: 1-line block ×4, first 2 shown]
	v_sub_nc_u16 v10, v10, v11
	s_delay_alu instid0(VALU_DEP_1)
	v_and_b32_e32 v10, 0xff, v10
	scratch_store_b32 off, v10, off offset:64 ; 4-byte Folded Spill
	v_lshlrev_b32_e32 v10, 4, v10
	global_load_b128 v[10:13], v10, s[2:3]
	s_wait_loadcnt_dscnt 0x609
	v_mul_f64_e32 v[96:97], v[78:79], v[42:43]
	v_mul_f64_e32 v[98:99], v[76:77], v[42:43]
	s_wait_loadcnt_dscnt 0x508
	v_mul_f64_e32 v[101:102], v[74:75], v[34:35]
	v_mul_f64_e32 v[103:104], v[72:73], v[34:35]
	;; [unrolled: 3-line block ×3, first 2 shown]
	s_wait_loadcnt 0x1
	scratch_store_b128 off, v[28:31], off offset:120 ; 16-byte Folded Spill
	s_wait_dscnt 0x0
	v_mul_f64_e32 v[117:118], v[90:91], v[30:31]
	v_mul_f64_e32 v[119:120], v[88:89], v[30:31]
	;; [unrolled: 1-line block ×6, first 2 shown]
	s_clause 0x4
	scratch_store_b128 off, v[52:55], off offset:216
	scratch_store_b128 off, v[40:43], off offset:168
	scratch_store_b128 off, v[44:47], off offset:184
	scratch_store_b128 off, v[32:35], off offset:136
	scratch_store_b128 off, v[36:39], off offset:152
	v_fma_f64 v[76:77], v[76:77], v[40:41], -v[96:97]
	v_fma_f64 v[78:79], v[78:79], v[40:41], v[98:99]
	v_fma_f64 v[96:97], v[72:73], v[32:33], -v[101:102]
	v_fma_f64 v[98:99], v[74:75], v[32:33], v[103:104]
	;; [unrolled: 2-line block ×4, first 2 shown]
	v_fma_f64 v[101:102], v[80:81], v[44:45], -v[109:110]
	s_wait_loadcnt 0x0
	v_mul_f64_e32 v[105:106], v[22:23], v[12:13]
	v_mul_f64_e32 v[107:108], v[20:21], v[12:13]
	v_fma_f64 v[103:104], v[82:83], v[44:45], v[111:112]
	v_fma_f64 v[92:93], v[92:93], v[36:37], -v[113:114]
	v_fma_f64 v[94:95], v[94:95], v[36:37], v[115:116]
	scratch_store_b128 off, v[10:13], off offset:372 ; 16-byte Folded Spill
	global_wb scope:SCOPE_SE
	s_wait_storecnt 0x0
	s_wait_kmcnt 0x0
	s_barrier_signal -1
	s_barrier_wait -1
	global_inv scope:SCOPE_SE
	v_add_f64_e64 v[72:73], v[24:25], -v[76:77]
	v_add_f64_e64 v[74:75], v[26:27], -v[78:79]
	;; [unrolled: 1-line block ×9, first 2 shown]
	v_fma_f64 v[88:89], v[20:21], v[10:11], -v[105:106]
	v_fma_f64 v[90:91], v[22:23], v[10:11], v[107:108]
	v_add_f64_e64 v[86:87], v[62:63], -v[103:104]
	v_add_f64_e64 v[92:93], v[64:65], -v[92:93]
	;; [unrolled: 1-line block ×3, first 2 shown]
	v_cndmask_b32_e64 v10, 0, 34, s1
	s_delay_alu instid0(VALU_DEP_1) | instskip(NEXT) | instid1(VALU_DEP_1)
	v_add_nc_u32_e32 v10, v100, v10
	v_add_lshl_u32 v10, v211, v10, 4
	scratch_store_b32 off, v10, off offset:232 ; 4-byte Folded Spill
	v_fma_f64 v[20:21], v[24:25], 2.0, -v[72:73]
	v_fma_f64 v[22:23], v[26:27], 2.0, -v[74:75]
	;; [unrolled: 1-line block ×7, first 2 shown]
	v_add_f64_e64 v[88:89], v[16:17], -v[88:89]
	v_add_f64_e64 v[90:91], v[18:19], -v[90:91]
	v_fma_f64 v[58:59], v[62:63], 2.0, -v[86:87]
	v_fma_f64 v[60:61], v[64:65], 2.0, -v[92:93]
	;; [unrolled: 1-line block ×5, first 2 shown]
	ds_store_b128 v10, v[20:23]
	ds_store_b128 v10, v[72:75] offset:272
	ds_store_b128 v6, v[24:27]
	scratch_store_b32 off, v6, off offset:272 ; 4-byte Folded Spill
	ds_store_b128 v6, v[76:79] offset:272
	ds_store_b128 v5, v[48:51]
	scratch_store_b32 off, v5, off offset:264 ; 4-byte Folded Spill
	;; [unrolled: 3-line block ×5, first 2 shown]
	ds_store_b128 v0, v[96:99] offset:272
	s_and_saveexec_b32 s1, s0
	s_cbranch_execz .LBB0_11
; %bb.10:
	scratch_load_b32 v0, off, off offset:64 ; 4-byte Folded Reload
	v_fma_f64 v[18:19], v[18:19], 2.0, -v[90:91]
	v_fma_f64 v[16:17], v[16:17], 2.0, -v[88:89]
	s_wait_loadcnt 0x0
	v_add_lshl_u32 v0, v211, v0, 4
	ds_store_b128 v0, v[16:19] offset:6528
	ds_store_b128 v0, v[88:91] offset:6800
.LBB0_11:
	s_wait_alu 0xfffe
	s_or_b32 exec_lo, exec_lo, s1
	v_mad_co_u64_u32 v[84:85], null, 0xc0, v255, s[2:3]
	global_wb scope:SCOPE_SE
	s_wait_storecnt_dscnt 0x0
	s_barrier_signal -1
	s_barrier_wait -1
	global_inv scope:SCOPE_SE
	s_mov_b32 s28, 0x42a4c3d2
	s_mov_b32 s30, 0x66966769
	s_clause 0x3
	global_load_b128 v[0:3], v[84:85], off offset:272
	global_load_b128 v[4:7], v[84:85], off offset:448
	;; [unrolled: 1-line block ×4, first 2 shown]
	ds_load_b128 v[56:59], v239 offset:544
	ds_load_b128 v[60:63], v239 offset:6528
	s_mov_b32 s22, 0x2ef20147
	s_mov_b32 s26, 0x24c2f84
	;; [unrolled: 1-line block ×22, first 2 shown]
	v_mov_b32_e32 v156, v255
	s_mov_b32 s39, 0x3fe5384d
	s_wait_alu 0xfffe
	s_mov_b32 s38, s26
	s_mov_b32 s37, 0x3fefc445
	;; [unrolled: 1-line block ×5, first 2 shown]
	ds_load_b128 v[96:99], v239 offset:3808
	s_wait_loadcnt_dscnt 0x302
	v_mul_f64_e32 v[64:65], v[58:59], v[2:3]
	v_mul_f64_e32 v[66:67], v[56:57], v[2:3]
	scratch_store_b128 off, v[0:3], off offset:72 ; 16-byte Folded Spill
	s_wait_loadcnt 0x2
	scratch_store_b128 off, v[4:7], off offset:88 ; 16-byte Folded Spill
	s_wait_dscnt 0x1
	v_mul_f64_e32 v[68:69], v[60:61], v[6:7]
	v_mul_f64_e32 v[70:71], v[62:63], v[6:7]
	s_wait_loadcnt 0x1
	scratch_store_b128 off, v[12:15], off offset:200 ; 16-byte Folded Spill
	s_wait_loadcnt 0x0
	scratch_store_b128 off, v[8:11], off offset:104 ; 16-byte Folded Spill
	v_fma_f64 v[100:101], v[56:57], v[0:1], -v[64:65]
	v_fma_f64 v[102:103], v[58:59], v[0:1], v[66:67]
	global_load_b128 v[0:3], v[84:85], off offset:304
	ds_load_b128 v[56:59], v239 offset:1088
	v_fma_f64 v[94:95], v[62:63], v[4:5], v[68:69]
	v_fma_f64 v[92:93], v[60:61], v[4:5], -v[70:71]
	s_wait_dscnt 0x0
	v_mul_f64_e32 v[60:61], v[58:59], v[14:15]
	v_mul_f64_e32 v[62:63], v[56:57], v[14:15]
	s_delay_alu instid0(VALU_DEP_4) | instskip(NEXT) | instid1(VALU_DEP_4)
	v_add_f64_e32 v[142:143], v[102:103], v[94:95]
	v_add_f64_e32 v[112:113], v[100:101], v[92:93]
	s_delay_alu instid0(VALU_DEP_4) | instskip(NEXT) | instid1(VALU_DEP_4)
	v_fma_f64 v[128:129], v[56:57], v[12:13], -v[60:61]
	v_fma_f64 v[130:131], v[58:59], v[12:13], v[62:63]
	ds_load_b128 v[56:59], v239 offset:5984
	s_wait_dscnt 0x0
	v_mul_f64_e32 v[60:61], v[56:57], v[10:11]
	s_delay_alu instid0(VALU_DEP_1) | instskip(SKIP_2) | instid1(VALU_DEP_1)
	v_fma_f64 v[116:117], v[58:59], v[8:9], v[60:61]
	ds_load_b128 v[60:63], v239 offset:1632
	v_mul_f64_e32 v[58:59], v[58:59], v[10:11]
	v_fma_f64 v[118:119], v[56:57], v[8:9], -v[58:59]
	s_delay_alu instid0(VALU_DEP_1) | instskip(SKIP_1) | instid1(VALU_DEP_1)
	v_add_f64_e64 v[211:212], v[128:129], -v[118:119]
	s_wait_alu 0xfffe
	v_mul_f64_e32 v[28:29], s[38:39], v[211:212]
	v_mul_f64_e32 v[48:49], s[36:37], v[211:212]
	s_wait_loadcnt_dscnt 0x0
	v_mul_f64_e32 v[64:65], v[62:63], v[2:3]
	scratch_store_b128 off, v[0:3], off offset:280 ; 16-byte Folded Spill
	v_fma_f64 v[157:158], v[60:61], v[0:1], -v[64:65]
	v_mul_f64_e32 v[60:61], v[60:61], v[2:3]
	ds_load_b128 v[64:67], v239 offset:5440
	v_fma_f64 v[159:160], v[62:63], v[0:1], v[60:61]
	global_load_b128 v[0:3], v[84:85], off offset:416
	s_wait_loadcnt_dscnt 0x0
	v_mul_f64_e32 v[68:69], v[64:65], v[2:3]
	scratch_store_b128 off, v[0:3], off offset:296 ; 16-byte Folded Spill
	v_fma_f64 v[152:153], v[66:67], v[0:1], v[68:69]
	v_mul_f64_e32 v[66:67], v[66:67], v[2:3]
	ds_load_b128 v[68:71], v239 offset:2176
	v_fma_f64 v[154:155], v[64:65], v[0:1], -v[66:67]
	global_load_b128 v[0:3], v[84:85], off offset:320
	v_add_f64_e64 v[223:224], v[157:158], -v[154:155]
	s_wait_loadcnt_dscnt 0x0
	v_mul_f64_e32 v[72:73], v[68:69], v[2:3]
	scratch_store_b128 off, v[0:3], off offset:312 ; 16-byte Folded Spill
	v_fma_f64 v[163:164], v[70:71], v[0:1], v[72:73]
	v_mul_f64_e32 v[70:71], v[70:71], v[2:3]
	ds_load_b128 v[72:75], v239 offset:4896
	v_fma_f64 v[167:168], v[68:69], v[0:1], -v[70:71]
	global_load_b128 v[68:71], v[84:85], off offset:400
	s_wait_loadcnt_dscnt 0x0
	v_mul_f64_e32 v[76:77], v[72:73], v[70:71]
	s_delay_alu instid0(VALU_DEP_1)
	v_fma_f64 v[161:162], v[74:75], v[68:69], v[76:77]
	v_mul_f64_e32 v[74:75], v[74:75], v[70:71]
	ds_load_b128 v[76:79], v239 offset:2720
	v_add_f64_e64 v[225:226], v[163:164], -v[161:162]
	v_fma_f64 v[165:166], v[72:73], v[68:69], -v[74:75]
	global_load_b128 v[72:75], v[84:85], off offset:336
	v_add_f64_e32 v[229:230], v[163:164], v[161:162]
	v_mul_f64_e32 v[4:5], s[38:39], v[225:226]
	v_add_f64_e64 v[227:228], v[167:168], -v[165:166]
	v_mul_f64_e32 v[36:37], s[30:31], v[225:226]
	s_delay_alu instid0(VALU_DEP_2) | instskip(SKIP_1) | instid1(VALU_DEP_1)
	v_mul_f64_e32 v[231:232], s[22:23], v[227:228]
	v_mul_f64_e32 v[8:9], s[38:39], v[227:228]
	v_fma_f64 v[10:11], v[229:230], s[8:9], v[8:9]
	s_wait_loadcnt_dscnt 0x0
	v_mul_f64_e32 v[80:81], v[78:79], v[74:75]
	s_delay_alu instid0(VALU_DEP_1) | instskip(SKIP_2) | instid1(VALU_DEP_1)
	v_fma_f64 v[169:170], v[76:77], v[72:73], -v[80:81]
	global_load_b128 v[80:83], v[84:85], off offset:352
	v_mul_f64_e32 v[76:77], v[76:77], v[74:75]
	v_fma_f64 v[171:172], v[78:79], v[72:73], v[76:77]
	ds_load_b128 v[76:79], v239 offset:3264
	s_wait_loadcnt_dscnt 0x0
	v_mul_f64_e32 v[86:87], v[78:79], v[82:83]
	s_delay_alu instid0(VALU_DEP_1) | instskip(SKIP_1) | instid1(VALU_DEP_1)
	v_fma_f64 v[173:174], v[76:77], v[80:81], -v[86:87]
	v_mul_f64_e32 v[76:77], v[76:77], v[82:83]
	v_fma_f64 v[175:176], v[78:79], v[80:81], v[76:77]
	global_load_b128 v[76:79], v[84:85], off offset:368
	s_wait_loadcnt 0x0
	v_mul_f64_e32 v[86:87], v[98:99], v[78:79]
	s_delay_alu instid0(VALU_DEP_1) | instskip(SKIP_1) | instid1(VALU_DEP_2)
	v_fma_f64 v[177:178], v[96:97], v[76:77], -v[86:87]
	v_mul_f64_e32 v[86:87], v[96:97], v[78:79]
	v_add_f64_e64 v[252:253], v[173:174], -v[177:178]
	s_delay_alu instid0(VALU_DEP_2)
	v_fma_f64 v[179:180], v[98:99], v[76:77], v[86:87]
	global_load_b128 v[84:87], v[84:85], off offset:384
	ds_load_b128 v[96:99], v239 offset:4352
	v_add_f64_e32 v[248:249], v[173:174], v[177:178]
	v_mul_f64_e32 v[12:13], s[34:35], v[252:253]
	v_add_f64_e64 v[246:247], v[175:176], -v[179:180]
	v_add_f64_e32 v[254:255], v[175:176], v[179:180]
	s_delay_alu instid0(VALU_DEP_2) | instskip(NEXT) | instid1(VALU_DEP_2)
	v_mul_f64_e32 v[250:251], s[34:35], v[246:247]
	v_fma_f64 v[14:15], v[254:255], s[2:3], -v[12:13]
	v_mul_f64_e32 v[24:25], s[26:27], v[246:247]
	v_mul_f64_e32 v[64:65], s[22:23], v[246:247]
	s_delay_alu instid0(VALU_DEP_2) | instskip(NEXT) | instid1(VALU_DEP_2)
	v_fma_f64 v[26:27], v[248:249], s[8:9], -v[24:25]
	v_fma_f64 v[66:67], v[248:249], s[10:11], -v[64:65]
	s_wait_loadcnt_dscnt 0x0
	v_mul_f64_e32 v[104:105], v[98:99], v[86:87]
	s_delay_alu instid0(VALU_DEP_1) | instskip(SKIP_1) | instid1(VALU_DEP_2)
	v_fma_f64 v[181:182], v[96:97], v[84:85], -v[104:105]
	v_mul_f64_e32 v[96:97], v[96:97], v[86:87]
	v_add_f64_e32 v[235:236], v[169:170], v[181:182]
	s_delay_alu instid0(VALU_DEP_2) | instskip(SKIP_2) | instid1(VALU_DEP_3)
	v_fma_f64 v[183:184], v[98:99], v[84:85], v[96:97]
	v_add_f64_e64 v[96:97], v[102:103], -v[94:95]
	v_add_f64_e64 v[240:241], v[169:170], -v[181:182]
	;; [unrolled: 1-line block ×3, first 2 shown]
	s_delay_alu instid0(VALU_DEP_3)
	v_mul_f64_e32 v[98:99], s[24:25], v[96:97]
	v_mul_f64_e32 v[104:105], s[28:29], v[96:97]
	;; [unrolled: 1-line block ×6, first 2 shown]
	v_add_f64_e32 v[242:243], v[171:172], v[183:184]
	v_mul_f64_e32 v[244:245], s[26:27], v[240:241]
	v_mul_f64_e32 v[16:17], s[36:37], v[240:241]
	;; [unrolled: 1-line block ×4, first 2 shown]
	v_fma_f64 v[114:115], v[112:113], s[20:21], -v[98:99]
	v_fma_f64 v[120:121], v[112:113], s[20:21], v[98:99]
	v_fma_f64 v[122:123], v[112:113], s[16:17], -v[104:105]
	v_fma_f64 v[104:105], v[112:113], s[16:17], v[104:105]
	v_fma_f64 v[124:125], v[112:113], s[18:19], -v[106:107]
	v_fma_f64 v[140:141], v[112:113], s[2:3], -v[96:97]
	v_fma_f64 v[144:145], v[112:113], s[2:3], v[96:97]
	v_add_f64_e64 v[96:97], v[100:101], -v[92:93]
	v_fma_f64 v[106:107], v[112:113], s[18:19], v[106:107]
	v_fma_f64 v[132:133], v[112:113], s[10:11], -v[108:109]
	v_fma_f64 v[108:109], v[112:113], s[10:11], v[108:109]
	v_fma_f64 v[136:137], v[112:113], s[8:9], -v[110:111]
	v_fma_f64 v[110:111], v[112:113], s[8:9], v[110:111]
	v_fma_f64 v[18:19], v[242:243], s[18:19], v[16:17]
	;; [unrolled: 1-line block ×3, first 2 shown]
	v_fma_f64 v[20:21], v[242:243], s[16:17], -v[20:21]
	v_mul_f64_e32 v[98:99], s[24:25], v[96:97]
	v_mul_f64_e32 v[112:113], s[28:29], v[96:97]
	;; [unrolled: 1-line block ×6, first 2 shown]
	s_mov_b32 s25, 0x3fddbe06
	s_wait_alu 0xfffe
	v_mul_f64_e32 v[60:61], s[24:25], v[233:234]
	v_fma_f64 v[146:147], v[142:143], s[20:21], v[98:99]
	v_fma_f64 v[189:190], v[142:143], s[20:21], -v[98:99]
	v_fma_f64 v[193:194], v[142:143], s[18:19], v[126:127]
	v_fma_f64 v[195:196], v[142:143], s[18:19], -v[126:127]
	v_fma_f64 v[191:192], v[142:143], s[16:17], v[112:113]
	v_fma_f64 v[205:206], v[142:143], s[2:3], v[96:97]
	v_fma_f64 v[207:208], v[142:143], s[2:3], -v[96:97]
	ds_load_b128 v[96:99], v239
	v_fma_f64 v[112:113], v[142:143], s[16:17], -v[112:113]
	v_fma_f64 v[197:198], v[142:143], s[10:11], v[134:135]
	v_fma_f64 v[199:200], v[142:143], s[10:11], -v[134:135]
	v_fma_f64 v[201:202], v[142:143], s[8:9], v[138:139]
	v_fma_f64 v[203:204], v[142:143], s[8:9], -v[138:139]
	v_fma_f64 v[62:63], v[235:236], s[20:21], -v[60:61]
	s_wait_dscnt 0x0
	v_add_f64_e32 v[0:1], v[96:97], v[100:101]
	v_add_f64_e32 v[219:220], v[96:97], v[124:125]
	;; [unrolled: 1-line block ×13, first 2 shown]
	v_mul_f64_e32 v[195:196], s[28:29], v[211:212]
	v_add_f64_e32 v[217:218], v[98:99], v[191:192]
	v_add_f64_e32 v[140:141], v[98:99], v[205:206]
	;; [unrolled: 1-line block ×3, first 2 shown]
	v_mul_f64_e32 v[205:206], s[30:31], v[223:224]
	v_add_f64_e32 v[120:121], v[98:99], v[201:202]
	v_add_f64_e32 v[136:137], v[98:99], v[203:204]
	v_add_f64_e64 v[201:202], v[130:131], -v[116:117]
	v_add_f64_e32 v[203:204], v[159:160], v[152:153]
	scratch_store_b64 off, v[0:1], off offset:328 ; 8-byte Folded Spill
	v_add_f64_e32 v[0:1], v[98:99], v[102:103]
	v_add_f64_e32 v[102:103], v[96:97], v[104:105]
	v_fma_f64 v[30:31], v[193:194], s[8:9], v[28:29]
	v_fma_f64 v[50:51], v[193:194], s[18:19], v[48:49]
	v_fma_f64 v[48:49], v[193:194], s[18:19], -v[48:49]
	v_fma_f64 v[28:29], v[193:194], s[8:9], -v[28:29]
	v_mul_f64_e32 v[191:192], s[28:29], v[201:202]
	scratch_store_b64 off, v[0:1], off offset:336 ; 8-byte Folded Spill
	v_add_f64_e32 v[0:1], v[96:97], v[114:115]
	v_add_f64_e32 v[114:115], v[96:97], v[132:133]
	;; [unrolled: 1-line block ×5, first 2 shown]
	scratch_store_b64 off, v[0:1], off offset:344 ; 8-byte Folded Spill
	v_add_f64_e32 v[0:1], v[98:99], v[146:147]
	v_add_f64_e32 v[146:147], v[96:97], v[144:145]
	;; [unrolled: 1-line block ×3, first 2 shown]
	v_fma_f64 v[96:97], v[189:190], s[16:17], v[191:192]
	v_add_f64_e32 v[207:208], v[167:168], v[165:166]
	v_add_f64_e32 v[28:29], v[28:29], v[132:133]
	scratch_store_b64 off, v[0:1], off offset:352 ; 8-byte Folded Spill
	v_add_f64_e32 v[0:1], v[98:99], v[112:113]
	v_add_f64_e32 v[112:113], v[98:99], v[197:198]
	v_fma_f64 v[98:99], v[193:194], s[16:17], -v[195:196]
	v_add_f64_e32 v[197:198], v[157:158], v[154:155]
	v_add_f64_e32 v[96:97], v[96:97], v[209:210]
	v_mul_f64_e32 v[209:210], s[22:23], v[225:226]
	v_fma_f64 v[6:7], v[207:208], s[8:9], -v[4:5]
	v_fma_f64 v[38:39], v[207:208], s[18:19], -v[36:37]
	v_fma_f64 v[4:5], v[207:208], s[8:9], v[4:5]
	scratch_store_b64 off, v[0:1], off offset:360 ; 8-byte Folded Spill
	v_mul_f64_e32 v[0:1], s[34:35], v[223:224]
	v_add_f64_e32 v[98:99], v[98:99], v[213:214]
	v_add_f64_e64 v[213:214], v[159:160], -v[152:153]
	v_add_f64_e32 v[30:31], v[30:31], v[112:113]
	s_delay_alu instid0(VALU_DEP_4) | instskip(SKIP_1) | instid1(VALU_DEP_4)
	v_fma_f64 v[2:3], v[203:204], s[2:3], v[0:1]
	v_fma_f64 v[0:1], v[203:204], s[2:3], -v[0:1]
	v_mul_f64_e32 v[199:200], s[30:31], v[213:214]
	v_mul_f64_e32 v[32:33], s[24:25], v[213:214]
	;; [unrolled: 1-line block ×3, first 2 shown]
	s_delay_alu instid0(VALU_DEP_3) | instskip(NEXT) | instid1(VALU_DEP_3)
	v_fma_f64 v[104:105], v[197:198], s[18:19], v[199:200]
	v_fma_f64 v[34:35], v[197:198], s[20:21], -v[32:33]
	s_delay_alu instid0(VALU_DEP_3) | instskip(NEXT) | instid1(VALU_DEP_3)
	v_fma_f64 v[54:55], v[197:198], s[16:17], -v[52:53]
	v_add_f64_e32 v[96:97], v[104:105], v[96:97]
	v_fma_f64 v[104:105], v[203:204], s[18:19], -v[205:206]
	s_delay_alu instid0(VALU_DEP_1) | instskip(SKIP_1) | instid1(VALU_DEP_1)
	v_add_f64_e32 v[98:99], v[104:105], v[98:99]
	v_fma_f64 v[104:105], v[207:208], s[10:11], v[209:210]
	v_add_f64_e32 v[96:97], v[104:105], v[96:97]
	v_fma_f64 v[104:105], v[229:230], s[10:11], -v[231:232]
	s_delay_alu instid0(VALU_DEP_1) | instskip(SKIP_1) | instid1(VALU_DEP_1)
	v_add_f64_e32 v[98:99], v[104:105], v[98:99]
	v_fma_f64 v[104:105], v[235:236], s[8:9], v[237:238]
	v_add_f64_e32 v[96:97], v[104:105], v[96:97]
	v_fma_f64 v[104:105], v[242:243], s[8:9], -v[244:245]
	s_delay_alu instid0(VALU_DEP_1) | instskip(SKIP_1) | instid1(VALU_DEP_2)
	v_add_f64_e32 v[98:99], v[104:105], v[98:99]
	v_fma_f64 v[104:105], v[248:249], s[2:3], v[250:251]
	v_add_f64_e32 v[98:99], v[14:15], v[98:99]
	v_mul_f64_e32 v[14:15], s[22:23], v[201:202]
	s_delay_alu instid0(VALU_DEP_3) | instskip(NEXT) | instid1(VALU_DEP_2)
	v_add_f64_e32 v[96:97], v[104:105], v[96:97]
	v_fma_f64 v[104:105], v[189:190], s[10:11], -v[14:15]
	s_delay_alu instid0(VALU_DEP_1) | instskip(SKIP_1) | instid1(VALU_DEP_1)
	v_add_f64_e32 v[104:105], v[104:105], v[215:216]
	v_mul_f64_e32 v[215:216], s[22:23], v[211:212]
	v_fma_f64 v[106:107], v[193:194], s[10:11], v[215:216]
	s_delay_alu instid0(VALU_DEP_1) | instskip(SKIP_1) | instid1(VALU_DEP_2)
	v_add_f64_e32 v[106:107], v[106:107], v[217:218]
	v_mul_f64_e32 v[217:218], s[34:35], v[213:214]
	v_add_f64_e32 v[2:3], v[2:3], v[106:107]
	s_delay_alu instid0(VALU_DEP_2) | instskip(NEXT) | instid1(VALU_DEP_2)
	v_fma_f64 v[108:109], v[197:198], s[2:3], -v[217:218]
	v_add_f64_e32 v[2:3], v[10:11], v[2:3]
	s_delay_alu instid0(VALU_DEP_2) | instskip(SKIP_1) | instid1(VALU_DEP_3)
	v_add_f64_e32 v[104:105], v[108:109], v[104:105]
	v_mul_f64_e32 v[10:11], s[36:37], v[233:234]
	v_add_f64_e32 v[2:3], v[18:19], v[2:3]
	s_delay_alu instid0(VALU_DEP_3) | instskip(NEXT) | instid1(VALU_DEP_3)
	v_add_f64_e32 v[6:7], v[6:7], v[104:105]
	v_fma_f64 v[104:105], v[235:236], s[18:19], -v[10:11]
	v_mul_f64_e32 v[18:19], s[24:25], v[246:247]
	s_delay_alu instid0(VALU_DEP_2) | instskip(NEXT) | instid1(VALU_DEP_2)
	v_add_f64_e32 v[6:7], v[104:105], v[6:7]
	v_fma_f64 v[104:105], v[248:249], s[20:21], -v[18:19]
	s_delay_alu instid0(VALU_DEP_1) | instskip(SKIP_1) | instid1(VALU_DEP_1)
	v_add_f64_e32 v[104:105], v[104:105], v[6:7]
	v_mul_f64_e32 v[6:7], s[24:25], v[252:253]
	v_fma_f64 v[106:107], v[254:255], s[20:21], v[6:7]
	v_fma_f64 v[6:7], v[254:255], s[20:21], -v[6:7]
	s_delay_alu instid0(VALU_DEP_2) | instskip(SKIP_1) | instid1(VALU_DEP_1)
	v_add_f64_e32 v[106:107], v[106:107], v[2:3]
	v_mul_f64_e32 v[2:3], s[34:35], v[201:202]
	v_fma_f64 v[108:109], v[189:190], s[2:3], -v[2:3]
	v_fma_f64 v[2:3], v[189:190], s[2:3], v[2:3]
	s_delay_alu instid0(VALU_DEP_2) | instskip(SKIP_2) | instid1(VALU_DEP_3)
	v_add_f64_e32 v[108:109], v[108:109], v[219:220]
	v_mul_f64_e32 v[219:220], s[34:35], v[211:212]
	s_mov_b32 s35, 0x3fcea1e5
	v_add_f64_e32 v[2:3], v[2:3], v[126:127]
	s_wait_alu 0xfffe
	v_mul_f64_e32 v[40:41], s[34:35], v[233:234]
	v_mul_f64_e32 v[56:57], s[34:35], v[225:226]
	s_delay_alu instid0(VALU_DEP_4) | instskip(NEXT) | instid1(VALU_DEP_3)
	v_fma_f64 v[110:111], v[193:194], s[2:3], v[219:220]
	v_fma_f64 v[42:43], v[235:236], s[2:3], -v[40:41]
	s_delay_alu instid0(VALU_DEP_3) | instskip(NEXT) | instid1(VALU_DEP_3)
	v_fma_f64 v[58:59], v[207:208], s[2:3], -v[56:57]
	v_add_f64_e32 v[110:111], v[110:111], v[221:222]
	v_mul_f64_e32 v[221:222], s[40:41], v[213:214]
	s_delay_alu instid0(VALU_DEP_1) | instskip(NEXT) | instid1(VALU_DEP_1)
	v_fma_f64 v[185:186], v[197:198], s[10:11], -v[221:222]
	v_add_f64_e32 v[108:109], v[185:186], v[108:109]
	v_mul_f64_e32 v[185:186], s[40:41], v[223:224]
	s_delay_alu instid0(VALU_DEP_1) | instskip(NEXT) | instid1(VALU_DEP_1)
	v_fma_f64 v[187:188], v[203:204], s[10:11], v[185:186]
	v_add_f64_e32 v[110:111], v[187:188], v[110:111]
	v_mul_f64_e32 v[187:188], s[24:25], v[225:226]
	s_delay_alu instid0(VALU_DEP_1) | instskip(NEXT) | instid1(VALU_DEP_1)
	v_fma_f64 v[148:149], v[207:208], s[20:21], -v[187:188]
	v_add_f64_e32 v[108:109], v[148:149], v[108:109]
	v_mul_f64_e32 v[148:149], s[24:25], v[227:228]
	s_delay_alu instid0(VALU_DEP_1) | instskip(NEXT) | instid1(VALU_DEP_1)
	v_fma_f64 v[150:151], v[229:230], s[20:21], v[148:149]
	v_add_f64_e32 v[110:111], v[150:151], v[110:111]
	v_mul_f64_e32 v[150:151], s[28:29], v[233:234]
	s_delay_alu instid0(VALU_DEP_2) | instskip(NEXT) | instid1(VALU_DEP_2)
	v_add_f64_e32 v[22:23], v[22:23], v[110:111]
	v_fma_f64 v[100:101], v[235:236], s[16:17], -v[150:151]
	s_delay_alu instid0(VALU_DEP_1) | instskip(NEXT) | instid1(VALU_DEP_1)
	v_add_f64_e32 v[100:101], v[100:101], v[108:109]
	v_add_f64_e32 v[108:109], v[26:27], v[100:101]
	v_mul_f64_e32 v[26:27], s[26:27], v[252:253]
	s_delay_alu instid0(VALU_DEP_1) | instskip(NEXT) | instid1(VALU_DEP_1)
	v_fma_f64 v[100:101], v[254:255], s[8:9], v[26:27]
	v_add_f64_e32 v[110:111], v[100:101], v[22:23]
	v_mul_f64_e32 v[22:23], s[38:39], v[201:202]
	s_delay_alu instid0(VALU_DEP_1) | instskip(SKIP_1) | instid1(VALU_DEP_2)
	v_fma_f64 v[100:101], v[189:190], s[8:9], -v[22:23]
	v_fma_f64 v[22:23], v[189:190], s[8:9], v[22:23]
	v_add_f64_e32 v[100:101], v[100:101], v[114:115]
	s_delay_alu instid0(VALU_DEP_2) | instskip(NEXT) | instid1(VALU_DEP_2)
	v_add_f64_e32 v[22:23], v[22:23], v[134:135]
	v_add_f64_e32 v[34:35], v[34:35], v[100:101]
	v_mul_f64_e32 v[100:101], s[24:25], v[223:224]
	s_delay_alu instid0(VALU_DEP_2) | instskip(NEXT) | instid1(VALU_DEP_2)
	v_add_f64_e32 v[34:35], v[38:39], v[34:35]
	v_fma_f64 v[112:113], v[203:204], s[20:21], v[100:101]
	v_mul_f64_e32 v[38:39], s[30:31], v[227:228]
	s_mov_b32 s31, 0x3fea55e2
	s_mov_b32 s30, s28
	s_wait_alu 0xfffe
	v_mul_f64_e32 v[44:45], s[30:31], v[246:247]
	s_delay_alu instid0(VALU_DEP_4) | instskip(NEXT) | instid1(VALU_DEP_4)
	v_add_f64_e32 v[34:35], v[42:43], v[34:35]
	v_add_f64_e32 v[30:31], v[112:113], v[30:31]
	s_delay_alu instid0(VALU_DEP_4) | instskip(SKIP_2) | instid1(VALU_DEP_3)
	v_fma_f64 v[112:113], v[229:230], s[18:19], v[38:39]
	v_mul_f64_e32 v[42:43], s[34:35], v[240:241]
	v_fma_f64 v[46:47], v[248:249], s[16:17], -v[44:45]
	v_add_f64_e32 v[30:31], v[112:113], v[30:31]
	s_delay_alu instid0(VALU_DEP_3) | instskip(NEXT) | instid1(VALU_DEP_1)
	v_fma_f64 v[112:113], v[242:243], s[2:3], v[42:43]
	v_add_f64_e32 v[30:31], v[112:113], v[30:31]
	s_delay_alu instid0(VALU_DEP_4) | instskip(SKIP_1) | instid1(VALU_DEP_1)
	v_add_f64_e32 v[112:113], v[46:47], v[34:35]
	v_mul_f64_e32 v[34:35], s[30:31], v[252:253]
	v_fma_f64 v[46:47], v[254:255], s[16:17], v[34:35]
	s_delay_alu instid0(VALU_DEP_1) | instskip(SKIP_1) | instid1(VALU_DEP_1)
	v_add_f64_e32 v[114:115], v[46:47], v[30:31]
	v_mul_f64_e32 v[30:31], s[36:37], v[201:202]
	v_fma_f64 v[46:47], v[189:190], s[18:19], -v[30:31]
	v_fma_f64 v[30:31], v[189:190], s[18:19], v[30:31]
	s_delay_alu instid0(VALU_DEP_2) | instskip(NEXT) | instid1(VALU_DEP_2)
	v_add_f64_e32 v[46:47], v[46:47], v[122:123]
	v_add_f64_e32 v[30:31], v[30:31], v[138:139]
	s_delay_alu instid0(VALU_DEP_2) | instskip(SKIP_1) | instid1(VALU_DEP_2)
	v_add_f64_e32 v[46:47], v[54:55], v[46:47]
	v_mul_f64_e32 v[54:55], s[28:29], v[223:224]
	v_add_f64_e32 v[46:47], v[58:59], v[46:47]
	s_delay_alu instid0(VALU_DEP_2) | instskip(SKIP_1) | instid1(VALU_DEP_3)
	v_fma_f64 v[120:121], v[203:204], s[16:17], v[54:55]
	v_mul_f64_e32 v[58:59], s[34:35], v[227:228]
	v_add_f64_e32 v[46:47], v[62:63], v[46:47]
	s_delay_alu instid0(VALU_DEP_3) | instskip(NEXT) | instid1(VALU_DEP_3)
	v_add_f64_e32 v[50:51], v[120:121], v[50:51]
	v_fma_f64 v[120:121], v[229:230], s[2:3], v[58:59]
	v_mul_f64_e32 v[62:63], s[24:25], v[240:241]
	s_delay_alu instid0(VALU_DEP_2) | instskip(NEXT) | instid1(VALU_DEP_2)
	v_add_f64_e32 v[50:51], v[120:121], v[50:51]
	v_fma_f64 v[120:121], v[242:243], s[20:21], v[62:63]
	s_delay_alu instid0(VALU_DEP_1) | instskip(SKIP_2) | instid1(VALU_DEP_1)
	v_add_f64_e32 v[50:51], v[120:121], v[50:51]
	v_add_f64_e32 v[120:121], v[66:67], v[46:47]
	v_mul_f64_e32 v[46:47], s[22:23], v[252:253]
	v_fma_f64 v[66:67], v[254:255], s[10:11], v[46:47]
	v_fma_f64 v[46:47], v[254:255], s[10:11], -v[46:47]
	s_delay_alu instid0(VALU_DEP_2)
	v_add_f64_e32 v[122:123], v[66:67], v[50:51]
	v_mul_f64_e32 v[50:51], s[24:25], v[201:202]
	v_mul_f64_e32 v[201:202], s[24:25], v[211:212]
	;; [unrolled: 1-line block ×10, first 2 shown]
	v_fma_f64 v[66:67], v[189:190], s[20:21], -v[50:51]
	v_fma_f64 v[50:51], v[189:190], s[20:21], v[50:51]
	s_delay_alu instid0(VALU_DEP_2) | instskip(SKIP_1) | instid1(VALU_DEP_3)
	v_add_f64_e32 v[66:67], v[66:67], v[142:143]
	v_fma_f64 v[142:143], v[193:194], s[20:21], v[201:202]
	v_add_f64_e32 v[50:51], v[50:51], v[146:147]
	v_fma_f64 v[146:147], v[254:255], s[18:19], -v[246:247]
	s_delay_alu instid0(VALU_DEP_3) | instskip(SKIP_1) | instid1(VALU_DEP_1)
	v_add_f64_e32 v[140:141], v[142:143], v[140:141]
	v_fma_f64 v[142:143], v[197:198], s[8:9], -v[211:212]
	v_add_f64_e32 v[66:67], v[142:143], v[66:67]
	v_fma_f64 v[142:143], v[203:204], s[8:9], v[213:214]
	s_delay_alu instid0(VALU_DEP_1) | instskip(SKIP_1) | instid1(VALU_DEP_1)
	v_add_f64_e32 v[140:141], v[142:143], v[140:141]
	v_fma_f64 v[142:143], v[207:208], s[16:17], -v[223:224]
	v_add_f64_e32 v[66:67], v[142:143], v[66:67]
	v_fma_f64 v[142:143], v[229:230], s[16:17], v[225:226]
	s_delay_alu instid0(VALU_DEP_1) | instskip(SKIP_1) | instid1(VALU_DEP_1)
	;; [unrolled: 5-line block ×7, first 2 shown]
	v_add_f64_e32 v[50:51], v[144:145], v[50:51]
	v_fma_f64 v[144:145], v[242:243], s[10:11], -v[233:234]
	v_add_f64_e32 v[66:67], v[144:145], v[66:67]
	v_fma_f64 v[144:145], v[248:249], s[18:19], v[240:241]
	s_delay_alu instid0(VALU_DEP_2) | instskip(NEXT) | instid1(VALU_DEP_2)
	v_add_f64_e32 v[146:147], v[146:147], v[66:67]
	v_add_f64_e32 v[144:145], v[144:145], v[50:51]
	v_fma_f64 v[50:51], v[197:198], s[16:17], v[52:53]
	s_delay_alu instid0(VALU_DEP_1) | instskip(SKIP_1) | instid1(VALU_DEP_1)
	v_add_f64_e32 v[30:31], v[50:51], v[30:31]
	v_fma_f64 v[50:51], v[203:204], s[16:17], -v[54:55]
	v_add_f64_e32 v[48:49], v[50:51], v[48:49]
	v_fma_f64 v[50:51], v[207:208], s[2:3], v[56:57]
	s_delay_alu instid0(VALU_DEP_1) | instskip(SKIP_1) | instid1(VALU_DEP_1)
	v_add_f64_e32 v[30:31], v[50:51], v[30:31]
	v_fma_f64 v[50:51], v[229:230], s[2:3], -v[58:59]
	;; [unrolled: 5-line block ×3, first 2 shown]
	v_add_f64_e32 v[48:49], v[50:51], v[48:49]
	v_fma_f64 v[50:51], v[248:249], s[10:11], v[64:65]
	s_delay_alu instid0(VALU_DEP_2) | instskip(NEXT) | instid1(VALU_DEP_2)
	v_add_f64_e32 v[138:139], v[46:47], v[48:49]
	v_add_f64_e32 v[136:137], v[50:51], v[30:31]
	v_fma_f64 v[30:31], v[197:198], s[20:21], v[32:33]
	v_fma_f64 v[32:33], v[254:255], s[16:17], -v[34:35]
	s_delay_alu instid0(VALU_DEP_2) | instskip(SKIP_1) | instid1(VALU_DEP_1)
	v_add_f64_e32 v[22:23], v[30:31], v[22:23]
	v_fma_f64 v[30:31], v[203:204], s[20:21], -v[100:101]
	v_add_f64_e32 v[28:29], v[30:31], v[28:29]
	v_fma_f64 v[30:31], v[207:208], s[18:19], v[36:37]
	s_delay_alu instid0(VALU_DEP_1) | instskip(SKIP_1) | instid1(VALU_DEP_1)
	v_add_f64_e32 v[22:23], v[30:31], v[22:23]
	v_fma_f64 v[30:31], v[229:230], s[18:19], -v[38:39]
	v_add_f64_e32 v[28:29], v[30:31], v[28:29]
	v_fma_f64 v[30:31], v[235:236], s[2:3], v[40:41]
	s_delay_alu instid0(VALU_DEP_1) | instskip(SKIP_1) | instid1(VALU_DEP_1)
	v_add_f64_e32 v[22:23], v[30:31], v[22:23]
	v_fma_f64 v[30:31], v[242:243], s[2:3], -v[42:43]
	v_add_f64_e32 v[28:29], v[30:31], v[28:29]
	v_fma_f64 v[30:31], v[248:249], s[16:17], v[44:45]
	s_delay_alu instid0(VALU_DEP_2) | instskip(NEXT) | instid1(VALU_DEP_2)
	v_add_f64_e32 v[134:135], v[32:33], v[28:29]
	v_add_f64_e32 v[132:133], v[30:31], v[22:23]
	v_fma_f64 v[22:23], v[193:194], s[2:3], -v[219:220]
	v_fma_f64 v[28:29], v[197:198], s[10:11], v[221:222]
	s_delay_alu instid0(VALU_DEP_2) | instskip(NEXT) | instid1(VALU_DEP_2)
	v_add_f64_e32 v[22:23], v[22:23], v[124:125]
	v_add_f64_e32 v[2:3], v[28:29], v[2:3]
	v_fma_f64 v[28:29], v[203:204], s[10:11], -v[185:186]
	s_delay_alu instid0(VALU_DEP_1) | instskip(SKIP_1) | instid1(VALU_DEP_1)
	v_add_f64_e32 v[22:23], v[28:29], v[22:23]
	v_fma_f64 v[28:29], v[207:208], s[20:21], v[187:188]
	v_add_f64_e32 v[2:3], v[28:29], v[2:3]
	v_fma_f64 v[28:29], v[229:230], s[20:21], -v[148:149]
	s_delay_alu instid0(VALU_DEP_1) | instskip(SKIP_1) | instid1(VALU_DEP_2)
	v_add_f64_e32 v[22:23], v[28:29], v[22:23]
	v_fma_f64 v[28:29], v[235:236], s[16:17], v[150:151]
	v_add_f64_e32 v[20:21], v[20:21], v[22:23]
	v_fma_f64 v[22:23], v[248:249], s[8:9], v[24:25]
	v_fma_f64 v[24:25], v[254:255], s[8:9], -v[26:27]
	s_delay_alu instid0(VALU_DEP_4) | instskip(NEXT) | instid1(VALU_DEP_2)
	v_add_f64_e32 v[2:3], v[28:29], v[2:3]
	v_add_f64_e32 v[126:127], v[24:25], v[20:21]
	scratch_load_b64 v[20:21], off, off offset:360 th:TH_LOAD_LU ; 8-byte Folded Reload
	v_add_f64_e32 v[124:125], v[22:23], v[2:3]
	v_fma_f64 v[2:3], v[189:190], s[10:11], v[14:15]
	v_fma_f64 v[14:15], v[193:194], s[10:11], -v[215:216]
	s_delay_alu instid0(VALU_DEP_2) | instskip(SKIP_1) | instid1(VALU_DEP_2)
	v_add_f64_e32 v[2:3], v[2:3], v[102:103]
	s_wait_loadcnt 0x0
	v_add_f64_e32 v[14:15], v[14:15], v[20:21]
	v_fma_f64 v[20:21], v[197:198], s[2:3], v[217:218]
	s_delay_alu instid0(VALU_DEP_2) | instskip(NEXT) | instid1(VALU_DEP_2)
	v_add_f64_e32 v[0:1], v[0:1], v[14:15]
	v_add_f64_e32 v[2:3], v[20:21], v[2:3]
	s_delay_alu instid0(VALU_DEP_1)
	v_add_f64_e32 v[2:3], v[4:5], v[2:3]
	v_fma_f64 v[4:5], v[229:230], s[8:9], -v[8:9]
	scratch_load_b64 v[8:9], off, off offset:344 th:TH_LOAD_LU ; 8-byte Folded Reload
	v_add_f64_e32 v[0:1], v[4:5], v[0:1]
	v_fma_f64 v[4:5], v[235:236], s[18:19], v[10:11]
	v_fma_f64 v[10:11], v[229:230], s[10:11], v[231:232]
	s_delay_alu instid0(VALU_DEP_2) | instskip(SKIP_1) | instid1(VALU_DEP_1)
	v_add_f64_e32 v[2:3], v[4:5], v[2:3]
	v_fma_f64 v[4:5], v[242:243], s[18:19], -v[16:17]
	v_add_f64_e32 v[0:1], v[4:5], v[0:1]
	v_fma_f64 v[4:5], v[248:249], s[20:21], v[18:19]
	s_delay_alu instid0(VALU_DEP_2) | instskip(SKIP_1) | instid1(VALU_DEP_3)
	v_add_f64_e32 v[102:103], v[6:7], v[0:1]
	v_fma_f64 v[0:1], v[189:190], s[16:17], -v[191:192]
	v_add_f64_e32 v[100:101], v[4:5], v[2:3]
	v_fma_f64 v[2:3], v[193:194], s[16:17], v[195:196]
	v_fma_f64 v[4:5], v[197:198], s[18:19], -v[199:200]
	v_fma_f64 v[6:7], v[203:204], s[18:19], v[205:206]
	s_wait_loadcnt 0x0
	v_add_f64_e32 v[0:1], v[0:1], v[8:9]
	scratch_load_b64 v[8:9], off, off offset:352 th:TH_LOAD_LU ; 8-byte Folded Reload
	v_add_f64_e32 v[0:1], v[4:5], v[0:1]
	v_fma_f64 v[4:5], v[235:236], s[8:9], -v[237:238]
	s_wait_loadcnt 0x0
	v_add_f64_e32 v[2:3], v[2:3], v[8:9]
	v_fma_f64 v[8:9], v[207:208], s[10:11], -v[209:210]
	s_delay_alu instid0(VALU_DEP_2) | instskip(NEXT) | instid1(VALU_DEP_2)
	v_add_f64_e32 v[2:3], v[6:7], v[2:3]
	v_add_f64_e32 v[0:1], v[8:9], v[0:1]
	v_fma_f64 v[8:9], v[248:249], s[2:3], -v[250:251]
	v_fma_f64 v[6:7], v[242:243], s[8:9], v[244:245]
	s_delay_alu instid0(VALU_DEP_4) | instskip(NEXT) | instid1(VALU_DEP_4)
	v_add_f64_e32 v[2:3], v[10:11], v[2:3]
	v_add_f64_e32 v[0:1], v[4:5], v[0:1]
	v_fma_f64 v[10:11], v[254:255], s[2:3], v[12:13]
	s_delay_alu instid0(VALU_DEP_3) | instskip(NEXT) | instid1(VALU_DEP_3)
	v_add_f64_e32 v[2:3], v[6:7], v[2:3]
	v_add_f64_e32 v[148:149], v[8:9], v[0:1]
	scratch_load_b64 v[0:1], off, off offset:328 th:TH_LOAD_LU ; 8-byte Folded Reload
	v_add_f64_e32 v[150:151], v[10:11], v[2:3]
	scratch_load_b64 v[2:3], off, off offset:336 th:TH_LOAD_LU ; 8-byte Folded Reload
	s_wait_loadcnt 0x1
	v_add_f64_e32 v[0:1], v[0:1], v[128:129]
	s_delay_alu instid0(VALU_DEP_1) | instskip(NEXT) | instid1(VALU_DEP_1)
	v_add_f64_e32 v[0:1], v[0:1], v[157:158]
	v_add_f64_e32 v[0:1], v[0:1], v[167:168]
	s_delay_alu instid0(VALU_DEP_1) | instskip(NEXT) | instid1(VALU_DEP_1)
	v_add_f64_e32 v[0:1], v[0:1], v[169:170]
	v_add_f64_e32 v[0:1], v[0:1], v[173:174]
	s_delay_alu instid0(VALU_DEP_1) | instskip(NEXT) | instid1(VALU_DEP_1)
	v_add_f64_e32 v[0:1], v[0:1], v[177:178]
	v_add_f64_e32 v[0:1], v[0:1], v[181:182]
	s_delay_alu instid0(VALU_DEP_1) | instskip(NEXT) | instid1(VALU_DEP_1)
	v_add_f64_e32 v[0:1], v[0:1], v[165:166]
	v_add_f64_e32 v[0:1], v[0:1], v[154:155]
	s_delay_alu instid0(VALU_DEP_1) | instskip(NEXT) | instid1(VALU_DEP_1)
	v_add_f64_e32 v[0:1], v[0:1], v[118:119]
	v_add_f64_e32 v[92:93], v[0:1], v[92:93]
	scratch_load_b32 v0, off, off           ; 4-byte Folded Reload
	s_wait_loadcnt 0x1
	v_add_f64_e32 v[2:3], v[2:3], v[130:131]
	s_delay_alu instid0(VALU_DEP_1) | instskip(NEXT) | instid1(VALU_DEP_1)
	v_add_f64_e32 v[2:3], v[2:3], v[159:160]
	v_add_f64_e32 v[2:3], v[2:3], v[163:164]
	s_delay_alu instid0(VALU_DEP_1) | instskip(NEXT) | instid1(VALU_DEP_1)
	v_add_f64_e32 v[2:3], v[2:3], v[171:172]
	;; [unrolled: 3-line block ×4, first 2 shown]
	v_add_f64_e32 v[2:3], v[2:3], v[152:153]
	s_wait_loadcnt 0x0
	v_lshl_add_u32 v240, v156, 4, v0
	s_delay_alu instid0(VALU_DEP_2) | instskip(NEXT) | instid1(VALU_DEP_1)
	v_add_f64_e32 v[2:3], v[2:3], v[116:117]
	v_add_f64_e32 v[94:95], v[2:3], v[94:95]
	ds_store_b128 v240, v[104:107] offset:1088
	ds_store_b128 v240, v[108:111] offset:1632
	ds_store_b128 v240, v[112:115] offset:2176
	ds_store_b128 v240, v[120:123] offset:2720
	ds_store_b128 v240, v[140:143] offset:3264
	ds_store_b128 v240, v[144:147] offset:3808
	ds_store_b128 v240, v[136:139] offset:4352
	ds_store_b128 v240, v[132:135] offset:4896
	ds_store_b128 v240, v[124:127] offset:5440
	ds_store_b128 v240, v[100:103] offset:5984
	ds_store_b128 v240, v[96:99] offset:6528
	ds_store_b128 v240, v[148:151] offset:544
	ds_store_b128 v240, v[92:95]
	global_wb scope:SCOPE_SE
	s_wait_storecnt_dscnt 0x0
	s_barrier_signal -1
	s_barrier_wait -1
	global_inv scope:SCOPE_SE
	s_and_saveexec_b32 s1, vcc_lo
	s_cbranch_execz .LBB0_13
; %bb.12:
	scratch_load_b32 v4, off, off offset:60 ; 4-byte Folded Reload
	s_add_nc_u64 s[2:3], s[12:13], 0x1ba0
	s_wait_loadcnt 0x0
	s_clause 0x5
	global_load_b128 v[116:119], v4, s[12:13] offset:7072
	global_load_b128 v[128:131], v4, s[2:3] offset:416
	;; [unrolled: 1-line block ×6, first 2 shown]
	ds_load_b128 v[165:168], v240
	ds_load_b128 v[173:176], v240 offset:2496
	ds_load_b128 v[209:212], v240 offset:4992
	;; [unrolled: 1-line block ×11, first 2 shown]
	s_wait_loadcnt_dscnt 0x50b
	v_mul_f64_e32 v[0:1], v[167:168], v[118:119]
	v_mul_f64_e32 v[2:3], v[165:166], v[118:119]
	s_delay_alu instid0(VALU_DEP_2) | instskip(NEXT) | instid1(VALU_DEP_2)
	v_fma_f64 v[165:166], v[165:166], v[116:117], -v[0:1]
	v_fma_f64 v[167:168], v[167:168], v[116:117], v[2:3]
	ds_load_b128 v[116:119], v240 offset:416
	s_wait_loadcnt_dscnt 0x400
	v_mul_f64_e32 v[0:1], v[118:119], v[130:131]
	v_mul_f64_e32 v[2:3], v[116:117], v[130:131]
	s_delay_alu instid0(VALU_DEP_2) | instskip(NEXT) | instid1(VALU_DEP_2)
	v_fma_f64 v[116:117], v[116:117], v[128:129], -v[0:1]
	v_fma_f64 v[118:119], v[118:119], v[128:129], v[2:3]
	ds_load_b128 v[128:131], v240 offset:832
	s_wait_loadcnt_dscnt 0x300
	v_mul_f64_e32 v[0:1], v[130:131], v[154:155]
	v_mul_f64_e32 v[2:3], v[128:129], v[154:155]
	s_delay_alu instid0(VALU_DEP_2) | instskip(NEXT) | instid1(VALU_DEP_2)
	v_fma_f64 v[128:129], v[128:129], v[152:153], -v[0:1]
	v_fma_f64 v[130:131], v[130:131], v[152:153], v[2:3]
	ds_load_b128 v[152:155], v240 offset:1248
	s_wait_loadcnt_dscnt 0x200
	v_mul_f64_e32 v[0:1], v[154:155], v[159:160]
	v_mul_f64_e32 v[2:3], v[152:153], v[159:160]
	s_delay_alu instid0(VALU_DEP_2) | instskip(NEXT) | instid1(VALU_DEP_2)
	v_fma_f64 v[152:153], v[152:153], v[157:158], -v[0:1]
	v_fma_f64 v[154:155], v[154:155], v[157:158], v[2:3]
	ds_load_b128 v[157:160], v240 offset:1664
	s_wait_loadcnt_dscnt 0x100
	v_mul_f64_e32 v[0:1], v[159:160], v[163:164]
	v_mul_f64_e32 v[2:3], v[157:158], v[163:164]
	s_delay_alu instid0(VALU_DEP_2) | instskip(NEXT) | instid1(VALU_DEP_2)
	v_fma_f64 v[157:158], v[157:158], v[161:162], -v[0:1]
	v_fma_f64 v[159:160], v[159:160], v[161:162], v[2:3]
	ds_load_b128 v[161:164], v240 offset:2080
	s_wait_loadcnt_dscnt 0x0
	v_mul_f64_e32 v[0:1], v[163:164], v[171:172]
	v_mul_f64_e32 v[2:3], v[161:162], v[171:172]
	s_delay_alu instid0(VALU_DEP_2) | instskip(NEXT) | instid1(VALU_DEP_2)
	v_fma_f64 v[161:162], v[161:162], v[169:170], -v[0:1]
	v_fma_f64 v[163:164], v[163:164], v[169:170], v[2:3]
	global_load_b128 v[169:172], v4, s[2:3] offset:2496
	s_wait_loadcnt 0x0
	v_mul_f64_e32 v[0:1], v[175:176], v[171:172]
	v_mul_f64_e32 v[2:3], v[173:174], v[171:172]
	s_delay_alu instid0(VALU_DEP_2) | instskip(NEXT) | instid1(VALU_DEP_2)
	v_fma_f64 v[171:172], v[173:174], v[169:170], -v[0:1]
	v_fma_f64 v[173:174], v[175:176], v[169:170], v[2:3]
	global_load_b128 v[175:178], v4, s[2:3] offset:2912
	s_wait_loadcnt 0x0
	;; [unrolled: 7-line block ×11, first 2 shown]
	v_mul_f64_e32 v[0:1], v[235:236], v[231:232]
	v_mul_f64_e32 v[2:3], v[233:234], v[231:232]
	s_delay_alu instid0(VALU_DEP_2) | instskip(NEXT) | instid1(VALU_DEP_2)
	v_fma_f64 v[231:232], v[233:234], v[229:230], -v[0:1]
	v_fma_f64 v[233:234], v[235:236], v[229:230], v[2:3]
	ds_store_b128 v240, v[165:168]
	ds_store_b128 v240, v[116:119] offset:416
	ds_store_b128 v240, v[128:131] offset:832
	ds_store_b128 v240, v[152:155] offset:1248
	ds_store_b128 v240, v[157:160] offset:1664
	ds_store_b128 v240, v[161:164] offset:2080
	ds_store_b128 v240, v[171:174] offset:2496
	ds_store_b128 v240, v[177:180] offset:2912
	ds_store_b128 v240, v[183:186] offset:3328
	ds_store_b128 v240, v[189:192] offset:3744
	ds_store_b128 v240, v[195:198] offset:4160
	ds_store_b128 v240, v[201:204] offset:4576
	ds_store_b128 v240, v[207:210] offset:4992
	ds_store_b128 v240, v[213:216] offset:5408
	ds_store_b128 v240, v[219:222] offset:5824
	ds_store_b128 v240, v[225:228] offset:6240
	ds_store_b128 v240, v[231:234] offset:6656
.LBB0_13:
	s_wait_alu 0xfffe
	s_or_b32 exec_lo, exec_lo, s1
	global_wb scope:SCOPE_SE
	s_wait_dscnt 0x0
	s_barrier_signal -1
	s_barrier_wait -1
	global_inv scope:SCOPE_SE
	s_and_saveexec_b32 s1, vcc_lo
	s_cbranch_execz .LBB0_15
; %bb.14:
	ds_load_b128 v[92:95], v240
	ds_load_b128 v[148:151], v240 offset:416
	ds_load_b128 v[104:107], v240 offset:832
	;; [unrolled: 1-line block ×14, first 2 shown]
	s_wait_dscnt 0x0
	scratch_store_b128 off, v[0:3], off offset:36 ; 16-byte Folded Spill
	ds_load_b128 v[0:3], v240 offset:6240
	s_wait_dscnt 0x0
	scratch_store_b128 off, v[0:3], off offset:20 ; 16-byte Folded Spill
	ds_load_b128 v[0:3], v240 offset:6656
	s_wait_dscnt 0x0
	scratch_store_b128 off, v[0:3], off offset:4 ; 16-byte Folded Spill
.LBB0_15:
	s_wait_alu 0xfffe
	s_or_b32 exec_lo, exec_lo, s1
	s_clause 0x2
	scratch_load_b128 v[6:9], off, off offset:4
	scratch_load_b128 v[10:13], off, off offset:20
	;; [unrolled: 1-line block ×3, first 2 shown]
	s_mov_b32 s10, 0xeb564b22
	s_mov_b32 s11, 0xbfefdd0d
	;; [unrolled: 1-line block ×11, first 2 shown]
	s_wait_alu 0xfffe
	s_mov_b32 s20, s30
	s_mov_b32 s18, 0xc61f0d01
	;; [unrolled: 1-line block ×3, first 2 shown]
	v_add_f64_e64 v[52:53], v[114:115], -v[90:91]
	s_mov_b32 s24, 0x5d8e7cdc
	s_mov_b32 s25, 0x3fd71e95
	v_add_f64_e32 v[163:164], v[112:113], v[88:89]
	v_add_f64_e32 v[169:170], v[114:115], v[90:91]
	s_mov_b32 s22, 0x370991
	s_mov_b32 s23, 0x3fedd6d0
	v_add_f64_e64 v[183:184], v[112:113], -v[88:89]
	v_add_f64_e64 v[58:59], v[122:123], -v[98:99]
	s_mov_b32 s46, 0x7c9e640b
	s_mov_b32 s47, 0xbfeca52d
	v_add_f64_e32 v[171:172], v[120:121], v[96:97]
	v_add_f64_e32 v[177:178], v[122:123], v[98:99]
	s_mov_b32 s26, 0x2b2883cd
	s_mov_b32 s27, 0x3fdc86fa
	v_add_f64_e64 v[159:160], v[120:121], -v[96:97]
	v_add_f64_e64 v[62:63], v[142:143], -v[102:103]
	s_mov_b32 s36, 0x4363dd80
	s_mov_b32 s37, 0x3fe0d888
	;; [unrolled: 1-line block ×3, first 2 shown]
	s_wait_alu 0xfffe
	s_mov_b32 s48, s36
	v_add_f64_e32 v[179:180], v[140:141], v[100:101]
	v_add_f64_e32 v[185:186], v[142:143], v[102:103]
	s_mov_b32 s28, 0x910ea3b9
	s_mov_b32 s29, 0xbfeb34fa
	v_add_f64_e64 v[201:202], v[140:141], -v[100:101]
	v_add_f64_e64 v[64:65], v[146:147], -v[126:127]
	s_mov_b32 s42, 0x6c9a05f6
	s_mov_b32 s43, 0x3fe9895b
	v_add_f64_e32 v[187:188], v[144:145], v[124:125]
	v_add_f64_e32 v[189:190], v[146:147], v[126:127]
	s_mov_b32 s34, 0x6ed5f1bb
	s_mov_b32 s35, 0xbfe348c8
	v_add_f64_e64 v[205:206], v[144:145], -v[124:125]
	v_add_f64_e64 v[128:129], v[138:139], -v[134:135]
	s_mov_b32 s44, 0x2a9d6da3
	s_mov_b32 s45, 0x3fe58eea
	v_add_f64_e32 v[191:192], v[136:137], v[132:133]
	v_mul_f64_e32 v[22:23], s[24:25], v[52:53]
	v_add_f64_e32 v[193:194], v[138:139], v[134:135]
	s_mov_b32 s38, 0x75d4884
	s_mov_b32 s39, 0x3fe7a5f6
	v_mul_f64_e32 v[30:31], s[22:23], v[169:170]
	v_add_f64_e64 v[207:208], v[136:137], -v[132:133]
	v_mul_f64_e32 v[217:218], s[46:47], v[52:53]
	v_mul_f64_e32 v[165:166], s[26:27], v[169:170]
	;; [unrolled: 1-line block ×4, first 2 shown]
	s_mov_b32 s53, 0x3fefdd0d
	s_mov_b32 s52, s10
	v_mul_f64_e32 v[32:33], s[26:27], v[177:178]
	v_mul_f64_e32 v[173:174], s[8:9], v[177:178]
	s_mov_b32 s51, 0xbfd71e95
	s_mov_b32 s50, s24
	s_wait_alu 0xfffe
	v_mul_f64_e32 v[34:35], s[48:49], v[62:63]
	v_mul_f64_e32 v[223:224], s[52:53], v[62:63]
	s_mov_b32 s41, 0xbfe9895b
	s_mov_b32 s40, s42
	v_dual_mov_b32 v200, v53 :: v_dual_mov_b32 v199, v52
	v_mul_f64_e32 v[251:252], s[28:29], v[185:186]
	v_mul_f64_e32 v[209:210], s[2:3], v[185:186]
	v_dual_mov_b32 v198, v59 :: v_dual_mov_b32 v197, v58
	v_mul_f64_e32 v[247:248], s[42:43], v[64:65]
	v_mul_f64_e32 v[229:230], s[50:51], v[64:65]
	;; [unrolled: 3-line block ×3, first 2 shown]
	v_dual_mov_b32 v242, v63 :: v_dual_mov_b32 v241, v62
	v_mul_f64_e32 v[48:49], s[44:45], v[128:129]
	s_wait_alu 0xfffe
	v_mul_f64_e32 v[64:65], s[40:41], v[128:129]
	v_dual_mov_b32 v204, v129 :: v_dual_mov_b32 v203, v128
	global_wb scope:SCOPE_SE
	s_wait_loadcnt 0x0
	s_wait_storecnt 0x0
	v_mul_f64_e32 v[219:220], s[38:39], v[193:194]
	s_barrier_signal -1
	s_barrier_wait -1
	global_inv scope:SCOPE_SE
	v_add_f64_e64 v[46:47], v[150:151], -v[8:9]
	v_add_f64_e32 v[215:216], v[148:149], v[6:7]
	v_add_f64_e64 v[40:41], v[106:107], -v[12:13]
	v_add_f64_e32 v[152:153], v[104:105], v[10:11]
	v_add_f64_e32 v[225:226], v[150:151], v[8:9]
	v_add_f64_e64 v[231:232], v[148:149], -v[6:7]
	v_add_f64_e32 v[154:155], v[106:107], v[12:13]
	v_add_f64_e64 v[167:168], v[104:105], -v[10:11]
	v_add_f64_e64 v[44:45], v[110:111], -v[16:17]
	v_add_f64_e32 v[157:158], v[108:109], v[14:15]
	v_add_f64_e32 v[161:162], v[110:111], v[16:17]
	v_add_f64_e64 v[175:176], v[108:109], -v[14:15]
	v_mul_f64_e32 v[26:27], s[10:11], v[46:47]
	v_mul_f64_e32 v[235:236], s[30:31], v[46:47]
	;; [unrolled: 1-line block ×12, first 2 shown]
	v_dual_mov_b32 v182, v41 :: v_dual_mov_b32 v181, v40
	v_dual_mov_b32 v196, v45 :: v_dual_mov_b32 v195, v44
	v_fma_f64 v[0:1], v[215:216], s[2:3], -v[26:27]
	v_fma_f64 v[2:3], v[152:153], s[8:9], -v[245:246]
	v_fma_f64 v[4:5], v[167:168], s[16:17], v[18:19]
	s_delay_alu instid0(VALU_DEP_3) | instskip(NEXT) | instid1(VALU_DEP_1)
	v_add_f64_e32 v[0:1], v[92:93], v[0:1]
	v_add_f64_e32 v[0:1], v[2:3], v[0:1]
	v_fma_f64 v[2:3], v[231:232], s[10:11], v[233:234]
	s_delay_alu instid0(VALU_DEP_1) | instskip(NEXT) | instid1(VALU_DEP_1)
	v_add_f64_e32 v[2:3], v[94:95], v[2:3]
	v_add_f64_e32 v[2:3], v[4:5], v[2:3]
	v_fma_f64 v[4:5], v[157:158], s[18:19], -v[221:222]
	s_delay_alu instid0(VALU_DEP_1) | instskip(SKIP_1) | instid1(VALU_DEP_1)
	v_add_f64_e32 v[0:1], v[4:5], v[0:1]
	v_fma_f64 v[4:5], v[175:176], s[20:21], v[24:25]
	v_add_f64_e32 v[2:3], v[4:5], v[2:3]
	v_fma_f64 v[4:5], v[163:164], s[22:23], -v[22:23]
	s_delay_alu instid0(VALU_DEP_1) | instskip(SKIP_1) | instid1(VALU_DEP_1)
	v_add_f64_e32 v[0:1], v[4:5], v[0:1]
	v_fma_f64 v[4:5], v[183:184], s[24:25], v[30:31]
	;; [unrolled: 5-line block ×5, first 2 shown]
	v_add_f64_e32 v[2:3], v[4:5], v[2:3]
	v_fma_f64 v[4:5], v[191:192], s[38:39], -v[48:49]
	s_delay_alu instid0(VALU_DEP_1) | instskip(SKIP_2) | instid1(VALU_DEP_2)
	v_add_f64_e32 v[116:117], v[4:5], v[0:1]
	v_fma_f64 v[0:1], v[207:208], s[44:45], v[219:220]
	v_fma_f64 v[4:5], v[167:168], s[36:37], v[60:61]
	v_add_f64_e32 v[118:119], v[0:1], v[2:3]
	v_fma_f64 v[0:1], v[215:216], s[18:19], -v[235:236]
	v_fma_f64 v[2:3], v[152:153], s[28:29], -v[249:250]
	s_delay_alu instid0(VALU_DEP_2) | instskip(NEXT) | instid1(VALU_DEP_1)
	v_add_f64_e32 v[0:1], v[92:93], v[0:1]
	v_add_f64_e32 v[0:1], v[2:3], v[0:1]
	v_fma_f64 v[2:3], v[231:232], s[30:31], v[237:238]
	s_delay_alu instid0(VALU_DEP_1) | instskip(NEXT) | instid1(VALU_DEP_1)
	v_add_f64_e32 v[2:3], v[94:95], v[2:3]
	v_add_f64_e32 v[2:3], v[4:5], v[2:3]
	v_fma_f64 v[4:5], v[157:158], s[38:39], -v[253:254]
	s_delay_alu instid0(VALU_DEP_1) | instskip(SKIP_1) | instid1(VALU_DEP_1)
	v_add_f64_e32 v[0:1], v[4:5], v[0:1]
	v_fma_f64 v[4:5], v[175:176], s[44:45], v[66:67]
	v_add_f64_e32 v[2:3], v[4:5], v[2:3]
	v_fma_f64 v[4:5], v[163:164], s[26:27], -v[217:218]
	s_delay_alu instid0(VALU_DEP_1) | instskip(SKIP_1) | instid1(VALU_DEP_1)
	v_add_f64_e32 v[0:1], v[4:5], v[0:1]
	v_fma_f64 v[4:5], v[183:184], s[46:47], v[165:166]
	;; [unrolled: 5-line block ×5, first 2 shown]
	v_add_f64_e32 v[2:3], v[4:5], v[2:3]
	v_fma_f64 v[4:5], v[191:192], s[34:35], -v[64:65]
	s_delay_alu instid0(VALU_DEP_1) | instskip(SKIP_1) | instid1(VALU_DEP_1)
	v_add_f64_e32 v[128:129], v[4:5], v[0:1]
	v_mul_f64_e32 v[4:5], s[34:35], v[193:194]
	v_fma_f64 v[0:1], v[207:208], s[40:41], v[4:5]
	s_delay_alu instid0(VALU_DEP_1)
	v_add_f64_e32 v[130:131], v[0:1], v[2:3]
	s_and_saveexec_b32 s1, vcc_lo
	s_cbranch_execz .LBB0_17
; %bb.16:
	v_add_f64_e32 v[0:1], v[94:95], v[150:151]
	v_add_f64_e32 v[2:3], v[92:93], v[148:149]
	scratch_store_b64 off, v[4:5], off offset:360 ; 8-byte Folded Spill
	v_mul_f64_e32 v[38:39], s[48:49], v[46:47]
	v_mul_f64_e32 v[36:37], s[16:17], v[46:47]
	;; [unrolled: 1-line block ×4, first 2 shown]
	s_mov_b32 s57, 0xbfe58eea
	s_mov_b32 s56, s44
	v_mul_f64_e32 v[40:41], s[40:41], v[46:47]
	v_mul_f64_e32 v[42:43], s[46:47], v[46:47]
	s_wait_alu 0xfffe
	v_mul_f64_e32 v[46:47], s[56:57], v[46:47]
	s_mov_b32 s55, 0x3feca52d
	s_mov_b32 s54, s46
	v_mul_f64_e32 v[148:149], s[40:41], v[201:202]
	s_mov_b32 s59, 0x3fc7851a
	s_mov_b32 s58, s16
	scratch_store_b64 off, v[173:174], off offset:388 ; 8-byte Folded Spill
	v_dual_mov_b32 v174, v19 :: v_dual_mov_b32 v173, v18
	v_mul_f64_e32 v[18:19], s[46:47], v[231:232]
	v_add_f64_e32 v[0:1], v[0:1], v[106:107]
	v_add_f64_e32 v[2:3], v[2:3], v[104:105]
	v_mul_f64_e32 v[106:107], s[52:53], v[207:208]
	v_fma_f64 v[56:57], v[215:216], s[22:23], -v[44:45]
	v_fma_f64 v[44:45], v[215:216], s[22:23], v[44:45]
	v_fma_f64 v[52:53], v[215:216], s[34:35], -v[40:41]
	v_fma_f64 v[40:41], v[215:216], s[34:35], v[40:41]
	;; [unrolled: 2-line block ×4, first 2 shown]
	v_add_f64_e32 v[0:1], v[0:1], v[110:111]
	v_add_f64_e32 v[2:3], v[2:3], v[108:109]
	v_dual_mov_b32 v111, v23 :: v_dual_mov_b32 v110, v22
	v_mul_f64_e32 v[22:23], s[56:57], v[231:232]
	v_mul_f64_e32 v[108:109], s[52:53], v[203:204]
	v_add_f64_e32 v[44:45], v[92:93], v[44:45]
	v_add_f64_e32 v[52:53], v[92:93], v[52:53]
	;; [unrolled: 1-line block ×8, first 2 shown]
	v_dual_mov_b32 v113, v25 :: v_dual_mov_b32 v112, v24
	v_dual_mov_b32 v115, v29 :: v_dual_mov_b32 v114, v28
	s_delay_alu instid0(VALU_DEP_4) | instskip(NEXT) | instid1(VALU_DEP_4)
	v_add_f64_e32 v[0:1], v[0:1], v[122:123]
	v_add_f64_e32 v[2:3], v[2:3], v[120:121]
	v_dual_mov_b32 v123, v33 :: v_dual_mov_b32 v122, v32
	v_fma_f64 v[32:33], v[225:226], s[22:23], v[20:21]
	v_dual_mov_b32 v121, v31 :: v_dual_mov_b32 v120, v30
	v_fma_f64 v[20:21], v[225:226], s[22:23], -v[20:21]
	v_fma_f64 v[30:31], v[225:226], s[26:27], v[18:19]
	v_fma_f64 v[18:19], v[225:226], s[26:27], -v[18:19]
	v_add_f64_e32 v[0:1], v[0:1], v[142:143]
	v_add_f64_e32 v[2:3], v[2:3], v[140:141]
	v_dual_mov_b32 v140, v211 :: v_dual_mov_b32 v141, v212
	v_dual_mov_b32 v212, v51 :: v_dual_mov_b32 v211, v50
	v_fma_f64 v[50:51], v[215:216], s[28:29], -v[38:39]
	v_dual_mov_b32 v142, v209 :: v_dual_mov_b32 v143, v210
	v_dual_mov_b32 v210, v49 :: v_dual_mov_b32 v209, v48
	v_fma_f64 v[48:49], v[215:216], s[8:9], -v[36:37]
	v_fma_f64 v[36:37], v[215:216], s[8:9], v[36:37]
	v_fma_f64 v[38:39], v[215:216], s[28:29], v[38:39]
	v_add_f64_e32 v[20:21], v[94:95], v[20:21]
	v_add_f64_e32 v[30:31], v[94:95], v[30:31]
	;; [unrolled: 1-line block ×5, first 2 shown]
	v_dual_mov_b32 v144, v165 :: v_dual_mov_b32 v145, v166
	v_dual_mov_b32 v166, v35 :: v_dual_mov_b32 v165, v34
	v_fma_f64 v[34:35], v[225:226], s[38:39], v[22:23]
	v_fma_f64 v[22:23], v[225:226], s[38:39], -v[22:23]
	v_mul_f64_e32 v[146:147], s[30:31], v[197:198]
	v_add_f64_e32 v[48:49], v[92:93], v[48:49]
	v_add_f64_e32 v[36:37], v[92:93], v[36:37]
	;; [unrolled: 1-line block ×5, first 2 shown]
	v_mul_f64_e32 v[136:137], s[20:21], v[199:200]
	v_add_f64_e32 v[22:23], v[94:95], v[22:23]
	s_delay_alu instid0(VALU_DEP_4) | instskip(NEXT) | instid1(VALU_DEP_4)
	v_add_f64_e32 v[0:1], v[0:1], v[134:135]
	v_add_f64_e32 v[2:3], v[2:3], v[132:133]
	s_wait_alu 0xfffe
	v_mul_f64_e32 v[132:133], s[58:59], v[195:196]
	v_mul_f64_e32 v[134:135], s[20:21], v[183:184]
	s_delay_alu instid0(VALU_DEP_4) | instskip(NEXT) | instid1(VALU_DEP_4)
	v_add_f64_e32 v[0:1], v[0:1], v[126:127]
	v_add_f64_e32 v[2:3], v[2:3], v[124:125]
	v_mul_f64_e32 v[124:125], s[40:41], v[181:182]
	v_mul_f64_e32 v[126:127], s[58:59], v[175:176]
	s_delay_alu instid0(VALU_DEP_4) | instskip(NEXT) | instid1(VALU_DEP_4)
	v_add_f64_e32 v[0:1], v[0:1], v[102:103]
	v_add_f64_e32 v[2:3], v[2:3], v[100:101]
	s_delay_alu instid0(VALU_DEP_2) | instskip(NEXT) | instid1(VALU_DEP_2)
	v_add_f64_e32 v[0:1], v[0:1], v[98:99]
	v_add_f64_e32 v[2:3], v[2:3], v[96:97]
	s_delay_alu instid0(VALU_DEP_2) | instskip(NEXT) | instid1(VALU_DEP_2)
	;; [unrolled: 3-line block ×3, first 2 shown]
	v_add_f64_e32 v[0:1], v[0:1], v[16:17]
	v_add_f64_e32 v[2:3], v[2:3], v[14:15]
	v_mul_f64_e32 v[14:15], s[48:49], v[231:232]
	v_mul_f64_e32 v[16:17], s[40:41], v[231:232]
	s_delay_alu instid0(VALU_DEP_4) | instskip(NEXT) | instid1(VALU_DEP_4)
	v_add_f64_e32 v[0:1], v[0:1], v[12:13]
	v_add_f64_e32 v[4:5], v[2:3], v[10:11]
	v_mul_f64_e32 v[10:11], s[2:3], v[215:216]
	v_mul_f64_e32 v[12:13], s[16:17], v[231:232]
	v_fma_f64 v[28:29], v[225:226], s[34:35], v[16:17]
	v_fma_f64 v[16:17], v[225:226], s[34:35], -v[16:17]
	v_add_f64_e32 v[2:3], v[0:1], v[8:9]
	v_mul_f64_e32 v[8:9], s[10:11], v[231:232]
	v_add_f64_e32 v[0:1], v[4:5], v[6:7]
	v_mul_f64_e32 v[4:5], s[30:31], v[231:232]
	v_add_f64_e32 v[10:11], v[10:11], v[26:27]
	v_fma_f64 v[26:27], v[225:226], s[28:29], v[14:15]
	v_fma_f64 v[14:15], v[225:226], s[28:29], -v[14:15]
	v_mul_f64_e32 v[6:7], s[18:19], v[215:216]
	v_fma_f64 v[24:25], v[225:226], s[8:9], v[12:13]
	v_fma_f64 v[12:13], v[225:226], s[8:9], -v[12:13]
	v_add_f64_e32 v[28:29], v[94:95], v[28:29]
	v_add_f64_e32 v[16:17], v[94:95], v[16:17]
	v_mul_f64_e32 v[215:216], s[48:49], v[205:206]
	v_mul_f64_e32 v[225:226], s[16:17], v[207:208]
	;; [unrolled: 1-line block ×3, first 2 shown]
	v_add_f64_e64 v[8:9], v[233:234], -v[8:9]
	scratch_store_b128 off, v[0:3], off offset:4 ; 16-byte Folded Spill
	v_add_f64_e64 v[4:5], v[237:238], -v[4:5]
	v_dual_mov_b32 v2, v243 :: v_dual_mov_b32 v3, v244
	v_add_f64_e32 v[0:1], v[94:95], v[26:27]
	v_add_f64_e32 v[26:27], v[94:95], v[14:15]
	v_dual_mov_b32 v14, v64 :: v_dual_mov_b32 v15, v65
	v_add_f64_e32 v[6:7], v[6:7], v[235:236]
	v_add_f64_e32 v[24:25], v[94:95], v[24:25]
	;; [unrolled: 1-line block ×3, first 2 shown]
	v_mul_f64_e32 v[233:234], s[50:51], v[201:202]
	v_mul_f64_e32 v[237:238], s[10:11], v[205:206]
	;; [unrolled: 1-line block ×3, first 2 shown]
	v_add_f64_e32 v[64:65], v[94:95], v[8:9]
	v_mul_f64_e32 v[8:9], s[24:25], v[167:168]
	v_add_f64_e32 v[227:228], v[94:95], v[4:5]
	scratch_store_b64 off, v[0:1], off offset:352 ; 8-byte Folded Spill
	v_add_f64_e32 v[0:1], v[92:93], v[50:51]
	v_dual_mov_b32 v50, v159 :: v_dual_mov_b32 v51, v160
	v_dual_mov_b32 v160, v67 :: v_dual_mov_b32 v159, v66
	v_add_f64_e32 v[66:67], v[92:93], v[10:11]
	v_mul_f64_e32 v[10:11], s[24:25], v[181:182]
	v_add_f64_e32 v[62:63], v[92:93], v[6:7]
	v_mul_f64_e32 v[138:139], s[44:45], v[50:51]
	v_fma_f64 v[4:5], v[154:155], s[22:23], v[8:9]
	v_fma_f64 v[8:9], v[154:155], s[22:23], -v[8:9]
	scratch_store_b64 off, v[0:1], off offset:344 ; 8-byte Folded Spill
	v_add_f64_e32 v[0:1], v[94:95], v[32:33]
	v_mul_f64_e32 v[32:33], s[30:31], v[50:51]
	v_fma_f64 v[6:7], v[152:153], s[22:23], -v[10:11]
	v_fma_f64 v[10:11], v[152:153], s[22:23], v[10:11]
	v_add_f64_e32 v[4:5], v[4:5], v[24:25]
	v_mul_f64_e32 v[24:25], s[48:49], v[175:176]
	v_add_f64_e32 v[8:9], v[8:9], v[12:13]
	scratch_store_b64 off, v[0:1], off offset:36 ; 8-byte Folded Spill
	v_add_f64_e32 v[0:1], v[92:93], v[56:57]
	v_mul_f64_e32 v[56:57], s[46:47], v[175:176]
	v_add_f64_e32 v[6:7], v[6:7], v[48:49]
	v_add_f64_e32 v[10:11], v[10:11], v[36:37]
	v_fma_f64 v[48:49], v[161:162], s[28:29], v[24:25]
	v_fma_f64 v[12:13], v[161:162], s[28:29], -v[24:25]
	v_fma_f64 v[24:25], v[191:192], s[2:3], v[108:109]
	scratch_store_b64 off, v[0:1], off offset:20 ; 8-byte Folded Spill
	v_add_f64_e32 v[0:1], v[94:95], v[34:35]
	v_mul_f64_e32 v[34:35], s[10:11], v[199:200]
	v_add_f64_e32 v[4:5], v[48:49], v[4:5]
	v_mul_f64_e32 v[48:49], s[48:49], v[195:196]
	v_add_f64_e32 v[8:9], v[12:13], v[8:9]
	scratch_store_b64 off, v[0:1], off offset:336 ; 8-byte Folded Spill
	v_add_f64_e32 v[0:1], v[92:93], v[58:59]
	v_mul_f64_e32 v[58:59], s[56:57], v[181:182]
	v_fma_f64 v[88:89], v[157:158], s[28:29], -v[48:49]
	v_fma_f64 v[12:13], v[157:158], s[28:29], v[48:49]
	v_fma_f64 v[48:49], v[161:162], s[26:27], -v[56:57]
	scratch_store_b64 off, v[0:1], off offset:328 ; 8-byte Folded Spill
	v_dual_mov_b32 v0, v241 :: v_dual_mov_b32 v1, v242
	v_fma_f64 v[36:37], v[152:153], s[38:39], v[58:59]
	v_mul_f64_e32 v[241:242], s[10:11], v[2:3]
	s_delay_alu instid0(VALU_DEP_3)
	v_mul_f64_e32 v[150:151], s[40:41], v[0:1]
	v_mul_f64_e32 v[235:236], s[50:51], v[0:1]
	v_add_f64_e32 v[6:7], v[88:89], v[6:7]
	v_mul_f64_e32 v[88:89], s[44:45], v[183:184]
	v_add_f64_e32 v[10:11], v[12:13], v[10:11]
	v_add_f64_e32 v[36:37], v[36:37], v[44:45]
	v_mul_f64_e32 v[44:45], s[10:11], v[183:184]
	s_delay_alu instid0(VALU_DEP_4) | instskip(SKIP_1) | instid1(VALU_DEP_2)
	v_fma_f64 v[90:91], v[169:170], s[38:39], v[88:89]
	v_fma_f64 v[12:13], v[169:170], s[38:39], -v[88:89]
	v_add_f64_e32 v[4:5], v[90:91], v[4:5]
	v_mul_f64_e32 v[90:91], s[44:45], v[199:200]
	s_delay_alu instid0(VALU_DEP_3) | instskip(NEXT) | instid1(VALU_DEP_2)
	v_add_f64_e32 v[8:9], v[12:13], v[8:9]
	v_fma_f64 v[92:93], v[163:164], s[38:39], -v[90:91]
	v_fma_f64 v[12:13], v[163:164], s[38:39], v[90:91]
	s_delay_alu instid0(VALU_DEP_2) | instskip(SKIP_1) | instid1(VALU_DEP_3)
	v_add_f64_e32 v[6:7], v[92:93], v[6:7]
	v_mul_f64_e32 v[92:93], s[40:41], v[50:51]
	v_add_f64_e32 v[10:11], v[12:13], v[10:11]
	s_delay_alu instid0(VALU_DEP_2) | instskip(SKIP_1) | instid1(VALU_DEP_2)
	v_fma_f64 v[94:95], v[177:178], s[34:35], v[92:93]
	v_fma_f64 v[12:13], v[177:178], s[34:35], -v[92:93]
	v_add_f64_e32 v[4:5], v[94:95], v[4:5]
	v_mul_f64_e32 v[94:95], s[40:41], v[197:198]
	s_delay_alu instid0(VALU_DEP_3) | instskip(NEXT) | instid1(VALU_DEP_2)
	v_add_f64_e32 v[8:9], v[12:13], v[8:9]
	v_fma_f64 v[96:97], v[171:172], s[34:35], -v[94:95]
	v_fma_f64 v[12:13], v[171:172], s[34:35], v[94:95]
	s_delay_alu instid0(VALU_DEP_2) | instskip(SKIP_1) | instid1(VALU_DEP_3)
	v_add_f64_e32 v[6:7], v[96:97], v[6:7]
	v_mul_f64_e32 v[96:97], s[54:55], v[201:202]
	v_add_f64_e32 v[10:11], v[12:13], v[10:11]
	s_delay_alu instid0(VALU_DEP_2) | instskip(SKIP_2) | instid1(VALU_DEP_3)
	v_fma_f64 v[98:99], v[185:186], s[26:27], v[96:97]
	v_fma_f64 v[12:13], v[185:186], s[26:27], -v[96:97]
	v_mul_f64_e32 v[96:97], s[16:17], v[167:168]
	v_add_f64_e32 v[4:5], v[98:99], v[4:5]
	v_mul_f64_e32 v[98:99], s[54:55], v[0:1]
	s_delay_alu instid0(VALU_DEP_4) | instskip(NEXT) | instid1(VALU_DEP_4)
	v_add_f64_e32 v[8:9], v[12:13], v[8:9]
	v_add_f64_e64 v[96:97], v[173:174], -v[96:97]
	v_mul_f64_e32 v[173:174], s[30:31], v[207:208]
	s_delay_alu instid0(VALU_DEP_4)
	v_fma_f64 v[100:101], v[179:180], s[26:27], -v[98:99]
	v_fma_f64 v[12:13], v[179:180], s[26:27], v[98:99]
	v_mul_f64_e32 v[98:99], s[8:9], v[152:153]
	v_add_f64_e32 v[64:65], v[96:97], v[64:65]
	v_mul_f64_e32 v[96:97], s[28:29], v[179:180]
	v_add_f64_e32 v[6:7], v[100:101], v[6:7]
	;; [unrolled: 2-line block ×3, first 2 shown]
	v_add_f64_e32 v[98:99], v[98:99], v[245:246]
	v_add_f64_e32 v[96:97], v[96:97], v[165:166]
	v_mul_f64_e32 v[245:246], s[42:43], v[199:200]
	v_mul_f64_e32 v[165:166], s[44:45], v[2:3]
	v_fma_f64 v[102:103], v[189:190], s[18:19], v[100:101]
	v_fma_f64 v[12:13], v[189:190], s[18:19], -v[100:101]
	v_mul_f64_e32 v[100:101], s[24:25], v[183:184]
	v_add_f64_e32 v[66:67], v[98:99], v[66:67]
	v_mul_f64_e32 v[98:99], s[34:35], v[187:188]
	v_add_f64_e32 v[4:5], v[102:103], v[4:5]
	;; [unrolled: 2-line block ×3, first 2 shown]
	v_add_f64_e64 v[100:101], v[120:121], -v[100:101]
	v_add_f64_e32 v[98:99], v[98:99], v[247:248]
	v_mul_f64_e32 v[120:121], s[48:49], v[199:200]
	v_mul_f64_e32 v[247:248], s[50:51], v[50:51]
	v_fma_f64 v[12:13], v[187:188], s[18:19], v[102:103]
	v_fma_f64 v[104:105], v[187:188], s[18:19], -v[102:103]
	v_mul_f64_e32 v[102:103], s[22:23], v[163:164]
	s_delay_alu instid0(VALU_DEP_3) | instskip(SKIP_1) | instid1(VALU_DEP_4)
	v_add_f64_e32 v[12:13], v[12:13], v[10:11]
	v_fma_f64 v[10:11], v[193:194], s[2:3], -v[106:107]
	v_add_f64_e32 v[104:105], v[104:105], v[6:7]
	v_fma_f64 v[6:7], v[193:194], s[2:3], v[106:107]
	v_mul_f64_e32 v[106:107], s[46:47], v[50:51]
	v_add_f64_e32 v[102:103], v[102:103], v[110:111]
	v_mul_f64_e32 v[110:111], s[48:49], v[201:202]
	v_add_f64_e32 v[10:11], v[10:11], v[8:9]
	v_add_f64_e32 v[8:9], v[24:25], v[12:13]
	v_mul_f64_e32 v[12:13], s[56:57], v[167:168]
	v_add_f64_e32 v[6:7], v[6:7], v[4:5]
	v_fma_f64 v[4:5], v[191:192], s[2:3], -v[108:109]
	v_add_f64_e64 v[106:107], v[122:123], -v[106:107]
	v_mul_f64_e32 v[108:109], s[26:27], v[171:172]
	v_add_f64_e64 v[110:111], v[251:252], -v[110:111]
	v_mul_f64_e32 v[122:123], s[52:53], v[50:51]
	v_mul_f64_e32 v[251:252], s[16:17], v[201:202]
	v_fma_f64 v[24:25], v[154:155], s[38:39], -v[12:13]
	v_fma_f64 v[12:13], v[154:155], s[38:39], v[12:13]
	v_add_f64_e32 v[4:5], v[4:5], v[104:105]
	v_mul_f64_e32 v[104:105], s[18:19], v[157:158]
	v_add_f64_e32 v[108:109], v[108:109], v[114:115]
	v_mul_f64_e32 v[114:115], s[10:11], v[175:176]
	v_add_f64_e32 v[20:21], v[24:25], v[20:21]
	v_mul_f64_e32 v[24:25], s[48:49], v[2:3]
	v_add_f64_e32 v[104:105], v[104:105], v[221:222]
	s_delay_alu instid0(VALU_DEP_3) | instskip(SKIP_1) | instid1(VALU_DEP_1)
	v_add_f64_e32 v[20:21], v[48:49], v[20:21]
	v_mul_f64_e32 v[48:49], s[46:47], v[195:196]
	v_fma_f64 v[88:89], v[157:158], s[26:27], v[48:49]
	s_delay_alu instid0(VALU_DEP_1) | instskip(SKIP_1) | instid1(VALU_DEP_1)
	v_add_f64_e32 v[36:37], v[88:89], v[36:37]
	v_fma_f64 v[88:89], v[169:170], s[2:3], -v[44:45]
	v_add_f64_e32 v[20:21], v[88:89], v[20:21]
	v_fma_f64 v[88:89], v[163:164], s[2:3], v[34:35]
	s_delay_alu instid0(VALU_DEP_1) | instskip(SKIP_1) | instid1(VALU_DEP_1)
	v_add_f64_e32 v[36:37], v[88:89], v[36:37]
	v_fma_f64 v[88:89], v[177:178], s[18:19], -v[32:33]
	v_add_f64_e32 v[20:21], v[88:89], v[20:21]
	;; [unrolled: 5-line block ×5, first 2 shown]
	v_mul_f64_e32 v[20:21], s[16:17], v[203:204]
	s_delay_alu instid0(VALU_DEP_1) | instskip(SKIP_1) | instid1(VALU_DEP_2)
	v_fma_f64 v[88:89], v[191:192], s[8:9], v[20:21]
	v_fma_f64 v[20:21], v[191:192], s[8:9], -v[20:21]
	v_add_f64_e32 v[88:89], v[88:89], v[36:37]
	v_mul_f64_e32 v[36:37], s[40:41], v[167:168]
	s_delay_alu instid0(VALU_DEP_1) | instskip(NEXT) | instid1(VALU_DEP_1)
	v_fma_f64 v[92:93], v[154:155], s[34:35], -v[36:37]
	v_add_f64_e32 v[18:19], v[92:93], v[18:19]
	v_fma_f64 v[92:93], v[152:153], s[34:35], v[124:125]
	s_delay_alu instid0(VALU_DEP_1) | instskip(SKIP_1) | instid1(VALU_DEP_1)
	v_add_f64_e32 v[42:43], v[92:93], v[42:43]
	v_fma_f64 v[92:93], v[161:162], s[8:9], -v[126:127]
	v_add_f64_e32 v[18:19], v[92:93], v[18:19]
	v_fma_f64 v[92:93], v[157:158], s[8:9], v[132:133]
	s_delay_alu instid0(VALU_DEP_1) | instskip(SKIP_1) | instid1(VALU_DEP_1)
	v_add_f64_e32 v[42:43], v[92:93], v[42:43]
	;; [unrolled: 5-line block ×6, first 2 shown]
	v_fma_f64 v[92:93], v[193:194], s[28:29], -v[243:244]
	v_add_f64_e32 v[94:95], v[92:93], v[18:19]
	v_mul_f64_e32 v[18:19], s[48:49], v[203:204]
	s_delay_alu instid0(VALU_DEP_1) | instskip(SKIP_1) | instid1(VALU_DEP_2)
	v_fma_f64 v[92:93], v[191:192], s[28:29], v[18:19]
	v_fma_f64 v[18:19], v[191:192], s[28:29], -v[18:19]
	v_add_f64_e32 v[92:93], v[92:93], v[42:43]
	v_mul_f64_e32 v[42:43], s[20:21], v[175:176]
	s_delay_alu instid0(VALU_DEP_1) | instskip(SKIP_1) | instid1(VALU_DEP_2)
	v_add_f64_e64 v[42:43], v[112:113], -v[42:43]
	v_mul_f64_e32 v[112:113], s[54:55], v[181:182]
	v_add_f64_e32 v[42:43], v[42:43], v[64:65]
	v_add_f64_e32 v[64:65], v[104:105], v[66:67]
	v_mul_f64_e32 v[66:67], s[42:43], v[205:206]
	v_mul_f64_e32 v[104:105], s[16:17], v[50:51]
	s_delay_alu instid0(VALU_DEP_4) | instskip(NEXT) | instid1(VALU_DEP_4)
	v_add_f64_e32 v[42:43], v[100:101], v[42:43]
	v_add_f64_e32 v[64:65], v[102:103], v[64:65]
	s_delay_alu instid0(VALU_DEP_4)
	v_add_f64_e64 v[66:67], v[211:212], -v[66:67]
	v_mul_f64_e32 v[100:101], s[44:45], v[207:208]
	v_mul_f64_e32 v[102:103], s[52:53], v[201:202]
	;; [unrolled: 1-line block ×3, first 2 shown]
	v_add_f64_e32 v[42:43], v[106:107], v[42:43]
	v_add_f64_e32 v[64:65], v[108:109], v[64:65]
	v_mul_f64_e32 v[108:109], s[28:29], v[152:153]
	v_add_f64_e64 v[100:101], v[219:220], -v[100:101]
	v_mul_f64_e32 v[106:107], s[26:27], v[163:164]
	v_add_f64_e64 v[102:103], v[142:143], -v[102:103]
	v_mul_f64_e32 v[219:220], s[16:17], v[2:3]
	v_add_f64_e32 v[42:43], v[110:111], v[42:43]
	v_add_f64_e32 v[64:65], v[96:97], v[64:65]
	v_mul_f64_e32 v[96:97], s[38:39], v[191:192]
	v_add_f64_e32 v[108:109], v[108:109], v[249:250]
	v_mul_f64_e32 v[110:111], s[38:39], v[157:158]
	;; [unrolled: 2-line block ×3, first 2 shown]
	v_mul_f64_e32 v[249:250], s[50:51], v[197:198]
	v_add_f64_e32 v[42:43], v[66:67], v[42:43]
	v_add_f64_e32 v[64:65], v[98:99], v[64:65]
	;; [unrolled: 1-line block ×3, first 2 shown]
	v_mul_f64_e32 v[66:67], s[50:51], v[205:206]
	v_add_f64_e32 v[110:111], v[110:111], v[253:254]
	v_mul_f64_e32 v[209:210], s[52:53], v[197:198]
	v_mul_f64_e32 v[253:254], s[16:17], v[0:1]
	v_add_f64_e32 v[98:99], v[100:101], v[42:43]
	v_mul_f64_e32 v[42:43], s[36:37], v[167:168]
	v_add_f64_e32 v[96:97], v[96:97], v[64:65]
	v_mul_f64_e32 v[64:65], s[44:45], v[175:176]
	v_mul_f64_e32 v[100:101], s[46:47], v[183:184]
	v_add_f64_e64 v[66:67], v[140:141], -v[66:67]
	v_add_f64_e64 v[42:43], v[60:61], -v[42:43]
	scratch_load_b64 v[60:61], off, off offset:388 th:TH_LOAD_LU ; 8-byte Folded Reload
	v_add_f64_e64 v[64:65], v[159:160], -v[64:65]
	v_add_f64_e64 v[100:101], v[144:145], -v[100:101]
	v_mul_f64_e32 v[159:160], s[44:45], v[205:206]
	v_add_f64_e32 v[42:43], v[42:43], v[227:228]
	v_mul_f64_e32 v[227:228], s[10:11], v[195:196]
	s_delay_alu instid0(VALU_DEP_2) | instskip(SKIP_1) | instid1(VALU_DEP_2)
	v_add_f64_e32 v[42:43], v[64:65], v[42:43]
	v_mul_f64_e32 v[64:65], s[2:3], v[179:180]
	v_add_f64_e32 v[42:43], v[100:101], v[42:43]
	s_delay_alu instid0(VALU_DEP_2) | instskip(SKIP_2) | instid1(VALU_DEP_2)
	v_add_f64_e32 v[64:65], v[64:65], v[223:224]
	v_mul_f64_e32 v[100:101], s[22:23], v[187:188]
	v_mul_f64_e32 v[223:224], s[54:55], v[207:208]
	v_add_f64_e32 v[100:101], v[100:101], v[229:230]
	v_mul_f64_e32 v[229:230], s[42:43], v[183:184]
	s_wait_loadcnt 0x0
	v_add_f64_e64 v[104:105], v[60:61], -v[104:105]
	v_add_f64_e32 v[60:61], v[108:109], v[62:63]
	v_mul_f64_e32 v[62:63], s[8:9], v[171:172]
	s_delay_alu instid0(VALU_DEP_3)
	v_add_f64_e32 v[42:43], v[104:105], v[42:43]
	scratch_load_b64 v[104:105], off, off offset:360 th:TH_LOAD_LU ; 8-byte Folded Reload
	v_add_f64_e32 v[60:61], v[110:111], v[60:61]
	v_add_f64_e32 v[62:63], v[62:63], v[213:214]
	v_mul_f64_e32 v[213:214], s[56:57], v[0:1]
	v_add_f64_e32 v[42:43], v[102:103], v[42:43]
	s_delay_alu instid0(VALU_DEP_4) | instskip(NEXT) | instid1(VALU_DEP_2)
	v_add_f64_e32 v[60:61], v[106:107], v[60:61]
	v_add_f64_e32 v[42:43], v[66:67], v[42:43]
	s_delay_alu instid0(VALU_DEP_2) | instskip(SKIP_1) | instid1(VALU_DEP_2)
	v_add_f64_e32 v[60:61], v[62:63], v[60:61]
	v_mul_f64_e32 v[62:63], s[40:41], v[207:208]
	v_add_f64_e32 v[60:61], v[64:65], v[60:61]
	v_mul_f64_e32 v[64:65], s[34:35], v[191:192]
	s_delay_alu instid0(VALU_DEP_2) | instskip(NEXT) | instid1(VALU_DEP_2)
	v_add_f64_e32 v[60:61], v[100:101], v[60:61]
	v_add_f64_e32 v[64:65], v[64:65], v[14:15]
	s_delay_alu instid0(VALU_DEP_1) | instskip(SKIP_2) | instid1(VALU_DEP_1)
	v_add_f64_e32 v[100:101], v[64:65], v[60:61]
	s_wait_loadcnt 0x0
	v_add_f64_e64 v[62:63], v[104:105], -v[62:63]
	v_add_f64_e32 v[102:103], v[62:63], v[42:43]
	v_mul_f64_e32 v[42:43], s[20:21], v[167:168]
	s_delay_alu instid0(VALU_DEP_1) | instskip(NEXT) | instid1(VALU_DEP_1)
	v_fma_f64 v[60:61], v[154:155], s[18:19], -v[42:43]
	v_add_f64_e32 v[16:17], v[60:61], v[16:17]
	v_mul_f64_e32 v[60:61], s[20:21], v[181:182]
	s_delay_alu instid0(VALU_DEP_1) | instskip(NEXT) | instid1(VALU_DEP_1)
	v_fma_f64 v[62:63], v[152:153], s[18:19], v[60:61]
	v_add_f64_e32 v[40:41], v[62:63], v[40:41]
	v_mul_f64_e32 v[62:63], s[50:51], v[175:176]
	s_delay_alu instid0(VALU_DEP_1) | instskip(NEXT) | instid1(VALU_DEP_1)
	v_fma_f64 v[64:65], v[161:162], s[22:23], -v[62:63]
	v_add_f64_e32 v[16:17], v[64:65], v[16:17]
	v_mul_f64_e32 v[64:65], s[50:51], v[195:196]
	s_delay_alu instid0(VALU_DEP_1) | instskip(NEXT) | instid1(VALU_DEP_1)
	v_fma_f64 v[66:67], v[157:158], s[22:23], v[64:65]
	v_add_f64_e32 v[40:41], v[66:67], v[40:41]
	v_mul_f64_e32 v[66:67], s[48:49], v[183:184]
	s_delay_alu instid0(VALU_DEP_1) | instskip(NEXT) | instid1(VALU_DEP_1)
	v_fma_f64 v[104:105], v[169:170], s[28:29], -v[66:67]
	v_add_f64_e32 v[16:17], v[104:105], v[16:17]
	v_fma_f64 v[104:105], v[163:164], s[28:29], v[120:121]
	s_delay_alu instid0(VALU_DEP_1) | instskip(SKIP_1) | instid1(VALU_DEP_1)
	v_add_f64_e32 v[40:41], v[104:105], v[40:41]
	v_fma_f64 v[104:105], v[177:178], s[2:3], -v[122:123]
	v_add_f64_e32 v[16:17], v[104:105], v[16:17]
	v_fma_f64 v[104:105], v[171:172], s[2:3], v[209:210]
	s_delay_alu instid0(VALU_DEP_1) | instskip(SKIP_1) | instid1(VALU_DEP_1)
	v_add_f64_e32 v[40:41], v[104:105], v[40:41]
	;; [unrolled: 5-line block ×4, first 2 shown]
	v_fma_f64 v[104:105], v[193:194], s[26:27], -v[223:224]
	v_add_f64_e32 v[106:107], v[104:105], v[16:17]
	v_mul_f64_e32 v[16:17], s[54:55], v[203:204]
	s_delay_alu instid0(VALU_DEP_1) | instskip(SKIP_1) | instid1(VALU_DEP_2)
	v_fma_f64 v[104:105], v[191:192], s[26:27], v[16:17]
	v_fma_f64 v[16:17], v[191:192], s[26:27], -v[16:17]
	v_add_f64_e32 v[104:105], v[104:105], v[40:41]
	v_mul_f64_e32 v[40:41], s[54:55], v[167:168]
	s_delay_alu instid0(VALU_DEP_1) | instskip(NEXT) | instid1(VALU_DEP_1)
	v_fma_f64 v[108:109], v[154:155], s[26:27], -v[40:41]
	v_add_f64_e32 v[14:15], v[108:109], v[26:27]
	v_fma_f64 v[108:109], v[152:153], s[26:27], v[112:113]
	scratch_load_b64 v[26:27], off, off offset:352 th:TH_LOAD_LU ; 8-byte Folded Reload
	v_add_f64_e32 v[38:39], v[108:109], v[38:39]
	v_fma_f64 v[108:109], v[161:162], s[2:3], -v[114:115]
	s_delay_alu instid0(VALU_DEP_1) | instskip(SKIP_1) | instid1(VALU_DEP_1)
	v_add_f64_e32 v[14:15], v[108:109], v[14:15]
	v_fma_f64 v[108:109], v[157:158], s[2:3], v[227:228]
	v_add_f64_e32 v[38:39], v[108:109], v[38:39]
	v_fma_f64 v[108:109], v[169:170], s[34:35], -v[229:230]
	s_delay_alu instid0(VALU_DEP_1) | instskip(SKIP_1) | instid1(VALU_DEP_1)
	v_add_f64_e32 v[14:15], v[108:109], v[14:15]
	v_fma_f64 v[108:109], v[163:164], s[34:35], v[245:246]
	;; [unrolled: 5-line block ×5, first 2 shown]
	v_add_f64_e32 v[38:39], v[108:109], v[38:39]
	v_fma_f64 v[108:109], v[193:194], s[18:19], -v[173:174]
	s_delay_alu instid0(VALU_DEP_1) | instskip(SKIP_1) | instid1(VALU_DEP_1)
	v_add_f64_e32 v[110:111], v[108:109], v[14:15]
	v_mul_f64_e32 v[14:15], s[30:31], v[203:204]
	v_fma_f64 v[108:109], v[191:192], s[18:19], v[14:15]
	v_fma_f64 v[14:15], v[191:192], s[18:19], -v[14:15]
	s_delay_alu instid0(VALU_DEP_2)
	v_add_f64_e32 v[108:109], v[108:109], v[38:39]
	v_fma_f64 v[38:39], v[154:155], s[26:27], v[40:41]
	scratch_load_b64 v[40:41], off, off offset:344 th:TH_LOAD_LU ; 8-byte Folded Reload
	s_wait_loadcnt 0x1
	v_add_f64_e32 v[26:27], v[38:39], v[26:27]
	v_fma_f64 v[38:39], v[152:153], s[26:27], -v[112:113]
	s_wait_loadcnt 0x0
	s_delay_alu instid0(VALU_DEP_1) | instskip(SKIP_1) | instid1(VALU_DEP_1)
	v_add_f64_e32 v[38:39], v[38:39], v[40:41]
	v_fma_f64 v[40:41], v[161:162], s[2:3], v[114:115]
	v_add_f64_e32 v[26:27], v[40:41], v[26:27]
	v_fma_f64 v[40:41], v[157:158], s[2:3], -v[227:228]
	s_delay_alu instid0(VALU_DEP_1) | instskip(SKIP_1) | instid1(VALU_DEP_1)
	v_add_f64_e32 v[38:39], v[40:41], v[38:39]
	v_fma_f64 v[40:41], v[169:170], s[34:35], v[229:230]
	v_add_f64_e32 v[26:27], v[40:41], v[26:27]
	v_fma_f64 v[40:41], v[163:164], s[34:35], -v[245:246]
	;; [unrolled: 5-line block ×5, first 2 shown]
	s_delay_alu instid0(VALU_DEP_1) | instskip(SKIP_1) | instid1(VALU_DEP_2)
	v_add_f64_e32 v[38:39], v[40:41], v[38:39]
	v_fma_f64 v[40:41], v[193:194], s[18:19], v[173:174]
	v_add_f64_e32 v[112:113], v[14:15], v[38:39]
	v_fma_f64 v[14:15], v[154:155], s[18:19], v[42:43]
	s_delay_alu instid0(VALU_DEP_3) | instskip(SKIP_2) | instid1(VALU_DEP_4)
	v_add_f64_e32 v[114:115], v[40:41], v[26:27]
	v_fma_f64 v[26:27], v[152:153], s[18:19], -v[60:61]
	v_mul_f64_e32 v[60:61], s[24:25], v[203:204]
	v_add_f64_e32 v[14:15], v[14:15], v[28:29]
	v_fma_f64 v[28:29], v[161:162], s[22:23], v[62:63]
	s_delay_alu instid0(VALU_DEP_4) | instskip(NEXT) | instid1(VALU_DEP_2)
	v_add_f64_e32 v[26:27], v[26:27], v[52:53]
	v_add_f64_e32 v[14:15], v[28:29], v[14:15]
	v_fma_f64 v[28:29], v[157:158], s[22:23], -v[64:65]
	s_delay_alu instid0(VALU_DEP_1) | instskip(SKIP_1) | instid1(VALU_DEP_1)
	v_add_f64_e32 v[26:27], v[28:29], v[26:27]
	v_fma_f64 v[28:29], v[169:170], s[28:29], v[66:67]
	v_add_f64_e32 v[14:15], v[28:29], v[14:15]
	v_fma_f64 v[28:29], v[163:164], s[28:29], -v[120:121]
	s_delay_alu instid0(VALU_DEP_1) | instskip(SKIP_1) | instid1(VALU_DEP_1)
	v_add_f64_e32 v[26:27], v[28:29], v[26:27]
	v_fma_f64 v[28:29], v[177:178], s[2:3], v[122:123]
	;; [unrolled: 5-line block ×4, first 2 shown]
	v_add_f64_e32 v[14:15], v[28:29], v[14:15]
	v_fma_f64 v[28:29], v[187:188], s[8:9], -v[219:220]
	s_delay_alu instid0(VALU_DEP_1) | instskip(SKIP_1) | instid1(VALU_DEP_2)
	v_add_f64_e32 v[26:27], v[28:29], v[26:27]
	v_fma_f64 v[28:29], v[193:194], s[26:27], v[223:224]
	v_add_f64_e32 v[120:121], v[16:17], v[26:27]
	s_delay_alu instid0(VALU_DEP_2) | instskip(SKIP_3) | instid1(VALU_DEP_3)
	v_add_f64_e32 v[122:123], v[28:29], v[14:15]
	v_fma_f64 v[14:15], v[154:155], s[34:35], v[36:37]
	v_fma_f64 v[16:17], v[152:153], s[34:35], -v[124:125]
	v_fma_f64 v[26:27], v[161:162], s[8:9], v[126:127]
	v_add_f64_e32 v[14:15], v[14:15], v[30:31]
	s_delay_alu instid0(VALU_DEP_3) | instskip(NEXT) | instid1(VALU_DEP_2)
	v_add_f64_e32 v[16:17], v[16:17], v[54:55]
	v_add_f64_e32 v[14:15], v[26:27], v[14:15]
	v_fma_f64 v[26:27], v[157:158], s[8:9], -v[132:133]
	s_delay_alu instid0(VALU_DEP_1) | instskip(SKIP_1) | instid1(VALU_DEP_1)
	v_add_f64_e32 v[16:17], v[26:27], v[16:17]
	v_fma_f64 v[26:27], v[169:170], s[18:19], v[134:135]
	v_add_f64_e32 v[14:15], v[26:27], v[14:15]
	v_fma_f64 v[26:27], v[163:164], s[18:19], -v[136:137]
	s_delay_alu instid0(VALU_DEP_1) | instskip(SKIP_1) | instid1(VALU_DEP_1)
	v_add_f64_e32 v[16:17], v[26:27], v[16:17]
	v_fma_f64 v[26:27], v[177:178], s[38:39], v[138:139]
	;; [unrolled: 5-line block ×4, first 2 shown]
	v_add_f64_e32 v[14:15], v[26:27], v[14:15]
	v_fma_f64 v[26:27], v[187:188], s[2:3], -v[241:242]
	s_delay_alu instid0(VALU_DEP_1) | instskip(SKIP_1) | instid1(VALU_DEP_2)
	v_add_f64_e32 v[16:17], v[26:27], v[16:17]
	v_fma_f64 v[26:27], v[193:194], s[28:29], v[243:244]
	v_add_f64_e32 v[124:125], v[18:19], v[16:17]
	s_delay_alu instid0(VALU_DEP_2) | instskip(SKIP_3) | instid1(VALU_DEP_3)
	v_add_f64_e32 v[126:127], v[26:27], v[14:15]
	v_mul_f64_e32 v[14:15], s[10:11], v[167:168]
	v_mul_f64_e32 v[26:27], s[40:41], v[175:176]
	;; [unrolled: 1-line block ×3, first 2 shown]
	v_fma_f64 v[16:17], v[154:155], s[2:3], -v[14:15]
	s_delay_alu instid0(VALU_DEP_3) | instskip(SKIP_1) | instid1(VALU_DEP_3)
	v_fma_f64 v[28:29], v[161:162], s[34:35], -v[26:27]
	v_fma_f64 v[14:15], v[154:155], s[2:3], v[14:15]
	v_add_f64_e32 v[16:17], v[16:17], v[22:23]
	v_fma_f64 v[22:23], v[152:153], s[2:3], v[18:19]
	s_delay_alu instid0(VALU_DEP_2) | instskip(SKIP_1) | instid1(VALU_DEP_3)
	v_add_f64_e32 v[16:17], v[28:29], v[16:17]
	v_mul_f64_e32 v[28:29], s[40:41], v[195:196]
	v_add_f64_e32 v[22:23], v[22:23], v[46:47]
	s_delay_alu instid0(VALU_DEP_2) | instskip(NEXT) | instid1(VALU_DEP_1)
	v_fma_f64 v[30:31], v[157:158], s[34:35], v[28:29]
	v_add_f64_e32 v[22:23], v[30:31], v[22:23]
	v_mul_f64_e32 v[30:31], s[16:17], v[183:184]
	s_delay_alu instid0(VALU_DEP_1) | instskip(NEXT) | instid1(VALU_DEP_1)
	v_fma_f64 v[36:37], v[169:170], s[8:9], -v[30:31]
	v_add_f64_e32 v[16:17], v[36:37], v[16:17]
	v_mul_f64_e32 v[36:37], s[16:17], v[199:200]
	s_delay_alu instid0(VALU_DEP_1) | instskip(NEXT) | instid1(VALU_DEP_1)
	v_fma_f64 v[38:39], v[163:164], s[8:9], v[36:37]
	v_add_f64_e32 v[22:23], v[38:39], v[22:23]
	v_mul_f64_e32 v[38:39], s[36:37], v[50:51]
	s_delay_alu instid0(VALU_DEP_1) | instskip(NEXT) | instid1(VALU_DEP_1)
	v_fma_f64 v[40:41], v[177:178], s[28:29], -v[38:39]
	v_add_f64_e32 v[16:17], v[40:41], v[16:17]
	v_mul_f64_e32 v[40:41], s[36:37], v[197:198]
	s_delay_alu instid0(VALU_DEP_1) | instskip(NEXT) | instid1(VALU_DEP_1)
	v_fma_f64 v[42:43], v[171:172], s[28:29], v[40:41]
	v_add_f64_e32 v[22:23], v[42:43], v[22:23]
	v_mul_f64_e32 v[42:43], s[20:21], v[201:202]
	s_delay_alu instid0(VALU_DEP_1) | instskip(NEXT) | instid1(VALU_DEP_1)
	v_fma_f64 v[46:47], v[185:186], s[18:19], -v[42:43]
	v_add_f64_e32 v[16:17], v[46:47], v[16:17]
	v_mul_f64_e32 v[46:47], s[20:21], v[0:1]
	scratch_load_b64 v[0:1], off, off offset:336 th:TH_LOAD_LU ; 8-byte Folded Reload
	v_fma_f64 v[50:51], v[179:180], s[18:19], v[46:47]
	s_delay_alu instid0(VALU_DEP_1) | instskip(SKIP_1) | instid1(VALU_DEP_1)
	v_add_f64_e32 v[22:23], v[50:51], v[22:23]
	v_mul_f64_e32 v[50:51], s[54:55], v[205:206]
	v_fma_f64 v[52:53], v[189:190], s[26:27], -v[50:51]
	s_delay_alu instid0(VALU_DEP_1) | instskip(SKIP_1) | instid1(VALU_DEP_1)
	v_add_f64_e32 v[16:17], v[52:53], v[16:17]
	v_mul_f64_e32 v[52:53], s[54:55], v[2:3]
	v_fma_f64 v[54:55], v[187:188], s[26:27], v[52:53]
	s_delay_alu instid0(VALU_DEP_1) | instskip(SKIP_1) | instid1(VALU_DEP_1)
	v_add_f64_e32 v[22:23], v[54:55], v[22:23]
	v_mul_f64_e32 v[54:55], s[24:25], v[207:208]
	v_fma_f64 v[62:63], v[193:194], s[22:23], -v[54:55]
	s_delay_alu instid0(VALU_DEP_1)
	v_add_f64_e32 v[134:135], v[62:63], v[16:17]
	v_fma_f64 v[16:17], v[191:192], s[22:23], v[60:61]
	s_wait_loadcnt 0x0
	v_add_f64_e32 v[14:15], v[14:15], v[0:1]
	scratch_load_b64 v[0:1], off, off offset:328 th:TH_LOAD_LU ; 8-byte Folded Reload
	v_add_f64_e32 v[132:133], v[16:17], v[22:23]
	v_fma_f64 v[16:17], v[152:153], s[2:3], -v[18:19]
	v_fma_f64 v[18:19], v[161:162], s[34:35], v[26:27]
	v_fma_f64 v[22:23], v[191:192], s[22:23], -v[60:61]
	s_delay_alu instid0(VALU_DEP_2)
	v_add_f64_e32 v[14:15], v[18:19], v[14:15]
	v_fma_f64 v[18:19], v[157:158], s[34:35], -v[28:29]
	s_wait_loadcnt 0x0
	v_add_f64_e32 v[16:17], v[16:17], v[0:1]
	scratch_load_b64 v[0:1], off, off offset:36 th:TH_LOAD_LU ; 8-byte Folded Reload
	v_add_f64_e32 v[16:17], v[18:19], v[16:17]
	v_fma_f64 v[18:19], v[169:170], s[8:9], v[30:31]
	s_delay_alu instid0(VALU_DEP_1) | instskip(SKIP_1) | instid1(VALU_DEP_1)
	v_add_f64_e32 v[14:15], v[18:19], v[14:15]
	v_fma_f64 v[18:19], v[163:164], s[8:9], -v[36:37]
	v_add_f64_e32 v[16:17], v[18:19], v[16:17]
	v_fma_f64 v[18:19], v[177:178], s[28:29], v[38:39]
	s_delay_alu instid0(VALU_DEP_1) | instskip(SKIP_1) | instid1(VALU_DEP_1)
	v_add_f64_e32 v[14:15], v[18:19], v[14:15]
	v_fma_f64 v[18:19], v[171:172], s[28:29], -v[40:41]
	;; [unrolled: 5-line block ×3, first 2 shown]
	v_add_f64_e32 v[16:17], v[18:19], v[16:17]
	v_fma_f64 v[18:19], v[189:190], s[26:27], v[50:51]
	s_delay_alu instid0(VALU_DEP_1)
	v_add_f64_e32 v[14:15], v[18:19], v[14:15]
	v_fma_f64 v[18:19], v[187:188], s[26:27], -v[52:53]
	s_wait_loadcnt 0x0
	v_add_f64_e32 v[12:13], v[12:13], v[0:1]
	scratch_load_b64 v[0:1], off, off offset:20 th:TH_LOAD_LU ; 8-byte Folded Reload
	v_add_f64_e32 v[16:17], v[18:19], v[16:17]
	v_fma_f64 v[18:19], v[193:194], s[22:23], v[54:55]
	s_delay_alu instid0(VALU_DEP_2) | instskip(NEXT) | instid1(VALU_DEP_2)
	v_add_f64_e32 v[136:137], v[22:23], v[16:17]
	v_add_f64_e32 v[138:139], v[18:19], v[14:15]
	v_fma_f64 v[14:15], v[152:153], s[38:39], -v[58:59]
	v_fma_f64 v[16:17], v[161:162], s[26:27], v[56:57]
	v_fma_f64 v[18:19], v[157:158], s[26:27], -v[48:49]
	v_fma_f64 v[22:23], v[169:170], s[2:3], v[44:45]
	s_delay_alu instid0(VALU_DEP_3) | instskip(SKIP_1) | instid1(VALU_DEP_2)
	v_add_f64_e32 v[12:13], v[16:17], v[12:13]
	v_fma_f64 v[16:17], v[163:164], s[2:3], -v[34:35]
	v_add_f64_e32 v[12:13], v[22:23], v[12:13]
	v_fma_f64 v[22:23], v[171:172], s[18:19], -v[146:147]
	s_wait_loadcnt 0x0
	v_add_f64_e32 v[14:15], v[14:15], v[0:1]
	scratch_load_b128 v[0:3], off, off offset:4 th:TH_LOAD_LU ; 16-byte Folded Reload
	v_add_f64_e32 v[14:15], v[18:19], v[14:15]
	v_fma_f64 v[18:19], v[177:178], s[18:19], v[32:33]
	s_delay_alu instid0(VALU_DEP_2) | instskip(SKIP_1) | instid1(VALU_DEP_3)
	v_add_f64_e32 v[14:15], v[16:17], v[14:15]
	v_fma_f64 v[16:17], v[185:186], s[34:35], v[148:149]
	v_add_f64_e32 v[12:13], v[18:19], v[12:13]
	v_fma_f64 v[18:19], v[179:180], s[34:35], -v[150:151]
	s_delay_alu instid0(VALU_DEP_4) | instskip(SKIP_1) | instid1(VALU_DEP_4)
	v_add_f64_e32 v[14:15], v[22:23], v[14:15]
	v_fma_f64 v[22:23], v[189:190], s[28:29], v[215:216]
	v_add_f64_e32 v[12:13], v[16:17], v[12:13]
	v_fma_f64 v[16:17], v[187:188], s[28:29], -v[24:25]
	s_delay_alu instid0(VALU_DEP_4) | instskip(SKIP_1) | instid1(VALU_DEP_4)
	v_add_f64_e32 v[14:15], v[18:19], v[14:15]
	v_fma_f64 v[18:19], v[193:194], s[8:9], v[225:226]
	v_add_f64_e32 v[12:13], v[22:23], v[12:13]
	s_delay_alu instid0(VALU_DEP_3) | instskip(NEXT) | instid1(VALU_DEP_2)
	v_add_f64_e32 v[14:15], v[16:17], v[14:15]
	v_add_f64_e32 v[142:143], v[18:19], v[12:13]
	scratch_load_b32 v13, off, off          ; 4-byte Folded Reload
	v_mul_lo_u16 v12, v156, 17
	s_delay_alu instid0(VALU_DEP_1) | instskip(SKIP_2) | instid1(VALU_DEP_2)
	v_and_b32_e32 v12, 0xffff, v12
	v_add_f64_e32 v[140:141], v[20:21], v[14:15]
	s_wait_loadcnt 0x0
	v_lshl_add_u32 v12, v12, 4, v13
	ds_store_b128 v12, v[0:3]
	ds_store_b128 v12, v[88:91] offset:16
	ds_store_b128 v12, v[132:135] offset:32
	;; [unrolled: 1-line block ×16, first 2 shown]
.LBB0_17:
	s_wait_alu 0xfffe
	s_or_b32 exec_lo, exec_lo, s1
	global_wb scope:SCOPE_SE
	s_wait_storecnt_dscnt 0x0
	s_barrier_signal -1
	s_barrier_wait -1
	global_inv scope:SCOPE_SE
	ds_load_b128 v[4:7], v239
	ds_load_b128 v[8:11], v239 offset:544
	ds_load_b128 v[104:107], v239 offset:3536
	;; [unrolled: 1-line block ×11, first 2 shown]
	s_and_saveexec_b32 s1, s0
	s_cbranch_execz .LBB0_19
; %bb.18:
	ds_load_b128 v[128:131], v239 offset:3264
	ds_load_b128 v[116:119], v239 offset:6800
.LBB0_19:
	s_wait_alu 0xfffe
	s_or_b32 exec_lo, exec_lo, s1
	s_clause 0x3
	scratch_load_b128 v[40:43], off, off offset:136 th:TH_LOAD_LU
	scratch_load_b128 v[36:39], off, off offset:120 th:TH_LOAD_LU
	;; [unrolled: 1-line block ×4, first 2 shown]
	s_wait_loadcnt_dscnt 0x308
	v_mul_f64_e32 v[16:17], v[42:43], v[102:103]
	v_mul_f64_e32 v[18:19], v[42:43], v[100:101]
	scratch_load_b128 v[42:45], off, off offset:152 th:TH_LOAD_LU ; 16-byte Folded Reload
	s_wait_loadcnt 0x2
	v_mul_f64_e32 v[12:13], v[48:49], v[106:107]
	v_mul_f64_e32 v[14:15], v[48:49], v[104:105]
	scratch_load_b128 v[48:51], off, off offset:184 th:TH_LOAD_LU ; 16-byte Folded Reload
	global_wb scope:SCOPE_SE
	s_wait_loadcnt_dscnt 0x0
	s_barrier_signal -1
	s_barrier_wait -1
	global_inv scope:SCOPE_SE
	v_mul_f64_e32 v[32:33], v[38:39], v[122:123]
	v_mul_f64_e32 v[34:35], v[38:39], v[120:121]
	v_mul_f64_e32 v[20:21], v[54:55], v[114:115]
	v_mul_f64_e32 v[22:23], v[54:55], v[112:113]
	v_fma_f64 v[16:17], v[40:41], v[100:101], v[16:17]
	v_fma_f64 v[18:19], v[40:41], v[102:103], -v[18:19]
	v_fma_f64 v[12:13], v[46:47], v[104:105], v[12:13]
	v_fma_f64 v[14:15], v[46:47], v[106:107], -v[14:15]
	v_fma_f64 v[20:21], v[52:53], v[112:113], v[20:21]
	v_fma_f64 v[22:23], v[52:53], v[114:115], -v[22:23]
	s_delay_alu instid0(VALU_DEP_1) | instskip(NEXT) | instid1(VALU_DEP_1)
	v_add_f64_e64 v[38:39], v[90:91], -v[22:23]
	v_fma_f64 v[90:91], v[90:91], 2.0, -v[38:39]
	v_mul_f64_e32 v[28:29], v[44:45], v[126:127]
	v_mul_f64_e32 v[30:31], v[44:45], v[124:125]
	;; [unrolled: 1-line block ×4, first 2 shown]
	v_fma_f64 v[50:51], v[36:37], v[122:123], -v[34:35]
	v_add_f64_e64 v[34:35], v[10:11], -v[18:19]
	v_fma_f64 v[44:45], v[42:43], v[124:125], v[28:29]
	v_add_f64_e64 v[28:29], v[4:5], -v[12:13]
	scratch_load_b32 v12, off, off offset:232 th:TH_LOAD_LU ; 4-byte Folded Reload
	v_fma_f64 v[46:47], v[42:43], v[126:127], -v[30:31]
	v_add_f64_e64 v[30:31], v[6:7], -v[14:15]
	v_fma_f64 v[24:25], v[48:49], v[108:109], v[24:25]
	v_fma_f64 v[26:27], v[48:49], v[110:111], -v[26:27]
	v_fma_f64 v[48:49], v[36:37], v[120:121], v[32:33]
	v_add_f64_e64 v[32:33], v[8:9], -v[16:17]
	v_fma_f64 v[10:11], v[10:11], 2.0, -v[34:35]
	v_add_f64_e64 v[36:37], v[88:89], -v[20:21]
	v_add_f64_e64 v[54:55], v[2:3], -v[50:51]
	;; [unrolled: 1-line block ×3, first 2 shown]
	v_fma_f64 v[4:5], v[4:5], 2.0, -v[28:29]
	v_add_f64_e64 v[46:47], v[98:99], -v[46:47]
	v_fma_f64 v[6:7], v[6:7], 2.0, -v[30:31]
	v_add_f64_e64 v[40:41], v[92:93], -v[24:25]
	v_add_f64_e64 v[42:43], v[94:95], -v[26:27]
	;; [unrolled: 1-line block ×3, first 2 shown]
	v_fma_f64 v[8:9], v[8:9], 2.0, -v[32:33]
	s_wait_loadcnt 0x0
	ds_store_b128 v12, v[4:7]
	ds_store_b128 v12, v[28:31] offset:272
	scratch_load_b32 v4, off, off offset:272 th:TH_LOAD_LU ; 4-byte Folded Reload
	v_fma_f64 v[88:89], v[88:89], 2.0, -v[36:37]
	v_fma_f64 v[92:93], v[92:93], 2.0, -v[40:41]
	;; [unrolled: 1-line block ×7, first 2 shown]
	s_wait_loadcnt 0x0
	ds_store_b128 v4, v[8:11]
	ds_store_b128 v4, v[32:35] offset:272
	scratch_load_b32 v4, off, off offset:264 th:TH_LOAD_LU ; 4-byte Folded Reload
	s_wait_loadcnt 0x0
	ds_store_b128 v4, v[88:91]
	ds_store_b128 v4, v[36:39] offset:272
	scratch_load_b32 v4, off, off offset:256 th:TH_LOAD_LU ; 4-byte Folded Reload
	;; [unrolled: 4-line block ×4, first 2 shown]
	s_wait_loadcnt 0x0
	ds_store_b128 v4, v[0:3]
	ds_store_b128 v4, v[52:55] offset:272
	s_and_saveexec_b32 s1, s0
	s_cbranch_execz .LBB0_21
; %bb.20:
	s_clause 0x2
	scratch_load_b128 v[4:7], off, off offset:372 th:TH_LOAD_LU
	scratch_load_b32 v8, off, off th:TH_LOAD_LU
	scratch_load_b32 v9, off, off offset:64 th:TH_LOAD_LU
	s_wait_loadcnt 0x2
	v_mul_f64_e32 v[0:1], v[6:7], v[116:117]
	v_mul_f64_e32 v[2:3], v[6:7], v[118:119]
	s_wait_loadcnt 0x0
	v_lshl_add_u32 v8, v9, 4, v8
	s_delay_alu instid0(VALU_DEP_3) | instskip(NEXT) | instid1(VALU_DEP_3)
	v_fma_f64 v[0:1], v[4:5], v[118:119], -v[0:1]
	v_fma_f64 v[4:5], v[4:5], v[116:117], v[2:3]
	s_delay_alu instid0(VALU_DEP_2) | instskip(NEXT) | instid1(VALU_DEP_2)
	v_add_f64_e64 v[2:3], v[130:131], -v[0:1]
	v_add_f64_e64 v[0:1], v[128:129], -v[4:5]
	s_delay_alu instid0(VALU_DEP_2) | instskip(NEXT) | instid1(VALU_DEP_2)
	v_fma_f64 v[6:7], v[130:131], 2.0, -v[2:3]
	v_fma_f64 v[4:5], v[128:129], 2.0, -v[0:1]
	ds_store_b128 v8, v[4:7] offset:6528
	ds_store_b128 v8, v[0:3] offset:6800
.LBB0_21:
	s_wait_alu 0xfffe
	s_or_b32 exec_lo, exec_lo, s1
	global_wb scope:SCOPE_SE
	s_wait_dscnt 0x0
	s_barrier_signal -1
	s_barrier_wait -1
	global_inv scope:SCOPE_SE
	s_clause 0x1
	scratch_load_b128 v[6:9], off, off offset:72 th:TH_LOAD_LU
	scratch_load_b128 v[12:15], off, off offset:88 th:TH_LOAD_LU
	ds_load_b128 v[0:3], v239 offset:544
	ds_load_b128 v[32:35], v239 offset:2720
	s_mov_b32 s30, 0x4267c47c
	s_mov_b32 s22, 0x42a4c3d2
	;; [unrolled: 1-line block ×30, first 2 shown]
	s_wait_alu 0xfffe
	s_mov_b32 s44, s30
	s_mov_b32 s42, s22
	;; [unrolled: 1-line block ×6, first 2 shown]
	scratch_load_b128 v[16:19], off, off offset:104 th:TH_LOAD_LU ; 16-byte Folded Reload
	ds_load_b128 v[48:51], v239 offset:3808
	scratch_load_b128 v[24:27], off, off offset:296 th:TH_LOAD_LU ; 16-byte Folded Reload
	ds_load_b128 v[36:39], v239 offset:4352
	s_wait_dscnt 0x1
	v_mul_f64_e32 v[42:43], v[78:79], v[48:49]
	s_delay_alu instid0(VALU_DEP_1) | instskip(SKIP_2) | instid1(VALU_DEP_1)
	v_fma_f64 v[42:43], v[76:77], v[50:51], -v[42:43]
	s_wait_loadcnt 0x3
	v_mul_f64_e32 v[4:5], v[8:9], v[2:3]
	v_fma_f64 v[44:45], v[6:7], v[0:1], v[4:5]
	v_mul_f64_e32 v[0:1], v[8:9], v[0:1]
	s_delay_alu instid0(VALU_DEP_1) | instskip(SKIP_4) | instid1(VALU_DEP_1)
	v_fma_f64 v[46:47], v[6:7], v[2:3], -v[0:1]
	scratch_load_b128 v[6:9], off, off offset:200 th:TH_LOAD_LU ; 16-byte Folded Reload
	ds_load_b128 v[0:3], v239 offset:1088
	s_wait_loadcnt_dscnt 0x0
	v_mul_f64_e32 v[4:5], v[8:9], v[0:1]
	v_fma_f64 v[4:5], v[6:7], v[2:3], -v[4:5]
	v_mul_f64_e32 v[2:3], v[8:9], v[2:3]
	s_delay_alu instid0(VALU_DEP_1) | instskip(SKIP_4) | instid1(VALU_DEP_2)
	v_fma_f64 v[10:11], v[6:7], v[0:1], v[2:3]
	ds_load_b128 v[6:9], v239 offset:6528
	s_wait_dscnt 0x0
	v_mul_f64_e32 v[0:1], v[14:15], v[6:7]
	v_mul_f64_e32 v[2:3], v[14:15], v[8:9]
	v_fma_f64 v[0:1], v[12:13], v[8:9], -v[0:1]
	s_delay_alu instid0(VALU_DEP_2)
	v_fma_f64 v[2:3], v[12:13], v[6:7], v[2:3]
	ds_load_b128 v[12:15], v239 offset:5984
	s_wait_dscnt 0x0
	v_mul_f64_e32 v[6:7], v[18:19], v[12:13]
	v_mul_f64_e32 v[8:9], v[18:19], v[14:15]
	scratch_load_b128 v[18:21], off, off offset:280 th:TH_LOAD_LU ; 16-byte Folded Reload
	v_add_f64_e32 v[60:61], v[44:45], v[2:3]
	v_fma_f64 v[6:7], v[16:17], v[14:15], -v[6:7]
	v_fma_f64 v[8:9], v[16:17], v[12:13], v[8:9]
	ds_load_b128 v[12:15], v239 offset:1632
	v_add_f64_e64 v[116:117], v[4:5], -v[6:7]
	v_add_f64_e32 v[118:119], v[4:5], v[6:7]
	s_delay_alu instid0(VALU_DEP_2) | instskip(NEXT) | instid1(VALU_DEP_2)
	v_mul_f64_e32 v[165:166], s[18:19], v[116:117]
	v_mul_f64_e32 v[167:168], s[0:1], v[118:119]
	v_mul_f64_e32 v[185:186], s[26:27], v[116:117]
	v_mul_f64_e32 v[187:188], s[20:21], v[118:119]
	s_wait_alu 0xfffe
	v_mul_f64_e32 v[205:206], s[36:37], v[116:117]
	v_mul_f64_e32 v[207:208], s[10:11], v[118:119]
	;; [unrolled: 1-line block ×3, first 2 shown]
	s_wait_loadcnt_dscnt 0x0
	v_mul_f64_e32 v[16:17], v[20:21], v[14:15]
	s_delay_alu instid0(VALU_DEP_1)
	v_fma_f64 v[16:17], v[18:19], v[12:13], v[16:17]
	v_mul_f64_e32 v[12:13], v[20:21], v[12:13]
	ds_load_b128 v[20:23], v239 offset:5440
	v_fma_f64 v[18:19], v[18:19], v[14:15], -v[12:13]
	s_wait_dscnt 0x0
	v_mul_f64_e32 v[12:13], v[26:27], v[22:23]
	v_mul_f64_e32 v[14:15], v[26:27], v[20:21]
	scratch_load_b128 v[26:29], off, off offset:312 th:TH_LOAD_LU ; 16-byte Folded Reload
	v_fma_f64 v[12:13], v[24:25], v[20:21], v[12:13]
	v_fma_f64 v[14:15], v[24:25], v[22:23], -v[14:15]
	ds_load_b128 v[20:23], v239 offset:2176
	v_add_f64_e64 v[124:125], v[16:17], -v[12:13]
	v_add_f64_e64 v[120:121], v[18:19], -v[14:15]
	v_add_f64_e32 v[122:123], v[18:19], v[14:15]
	s_delay_alu instid0(VALU_DEP_2) | instskip(NEXT) | instid1(VALU_DEP_2)
	v_mul_f64_e32 v[169:170], s[26:27], v[120:121]
	v_mul_f64_e32 v[126:127], s[8:9], v[122:123]
	v_mul_f64_e32 v[171:172], s[20:21], v[122:123]
	v_mul_f64_e32 v[189:190], s[38:39], v[120:121]
	v_mul_f64_e32 v[191:192], s[0:1], v[122:123]
	v_mul_f64_e32 v[209:210], s[44:45], v[120:121]
	v_mul_f64_e32 v[211:212], s[16:17], v[122:123]
	v_mul_f64_e32 v[227:228], s[22:23], v[120:121]
	v_mul_f64_e32 v[229:230], s[2:3], v[122:123]
	s_wait_loadcnt_dscnt 0x0
	v_mul_f64_e32 v[24:25], v[28:29], v[22:23]
	s_delay_alu instid0(VALU_DEP_1)
	v_fma_f64 v[24:25], v[26:27], v[20:21], v[24:25]
	v_mul_f64_e32 v[20:21], v[28:29], v[20:21]
	ds_load_b128 v[28:31], v239 offset:4896
	v_fma_f64 v[26:27], v[26:27], v[22:23], -v[20:21]
	s_wait_dscnt 0x0
	v_mul_f64_e32 v[20:21], v[70:71], v[30:31]
	v_mul_f64_e32 v[22:23], v[70:71], v[28:29]
	s_delay_alu instid0(VALU_DEP_2) | instskip(SKIP_1) | instid1(VALU_DEP_3)
	v_fma_f64 v[20:21], v[68:69], v[28:29], v[20:21]
	v_mul_f64_e32 v[28:29], v[74:75], v[34:35]
	v_fma_f64 v[22:23], v[68:69], v[30:31], -v[22:23]
	s_delay_alu instid0(VALU_DEP_3) | instskip(NEXT) | instid1(VALU_DEP_3)
	v_add_f64_e32 v[130:131], v[24:25], v[20:21]
	v_fma_f64 v[30:31], v[72:73], v[32:33], v[28:29]
	v_mul_f64_e32 v[28:29], v[74:75], v[32:33]
	v_mul_f64_e32 v[32:33], v[86:87], v[36:37]
	v_add_f64_e64 v[128:129], v[26:27], -v[22:23]
	v_add_f64_e32 v[134:135], v[26:27], v[22:23]
	v_add_f64_e64 v[136:137], v[24:25], -v[20:21]
	v_fma_f64 v[34:35], v[72:73], v[34:35], -v[28:29]
	v_mul_f64_e32 v[28:29], v[86:87], v[38:39]
	v_fma_f64 v[32:33], v[84:85], v[38:39], -v[32:33]
	ds_load_b128 v[38:41], v239 offset:3264
	v_mul_f64_e32 v[132:133], s[18:19], v[128:129]
	v_mul_f64_e32 v[138:139], s[0:1], v[134:135]
	;; [unrolled: 1-line block ×10, first 2 shown]
	v_fma_f64 v[28:29], v[84:85], v[36:37], v[28:29]
	s_wait_dscnt 0x0
	v_mul_f64_e32 v[36:37], v[82:83], v[40:41]
	v_add_f64_e64 v[84:85], v[44:45], -v[2:3]
	v_add_f64_e64 v[140:141], v[34:35], -v[32:33]
	v_add_f64_e32 v[146:147], v[34:35], v[32:33]
	v_add_f64_e32 v[142:143], v[30:31], v[28:29]
	v_fma_f64 v[36:37], v[80:81], v[38:39], v[36:37]
	v_mul_f64_e32 v[38:39], v[82:83], v[38:39]
	v_mul_f64_e32 v[144:145], s[24:25], v[140:141]
	v_add_f64_e64 v[148:149], v[30:31], -v[28:29]
	v_mul_f64_e32 v[150:151], s[10:11], v[146:147]
	v_mul_f64_e32 v[177:178], s[40:41], v[140:141]
	v_mul_f64_e32 v[179:180], s[8:9], v[146:147]
	v_mul_f64_e32 v[197:198], s[22:23], v[140:141]
	v_mul_f64_e32 v[199:200], s[2:3], v[146:147]
	v_mul_f64_e32 v[217:218], s[34:35], v[140:141]
	v_mul_f64_e32 v[219:220], s[20:21], v[146:147]
	v_mul_f64_e32 v[235:236], s[44:45], v[140:141]
	v_mul_f64_e32 v[237:238], s[16:17], v[146:147]
	v_fma_f64 v[38:39], v[80:81], v[40:41], -v[38:39]
	v_mul_f64_e32 v[40:41], v[78:79], v[50:51]
	s_delay_alu instid0(VALU_DEP_2) | instskip(NEXT) | instid1(VALU_DEP_2)
	v_add_f64_e64 v[152:153], v[38:39], -v[42:43]
	v_fma_f64 v[40:41], v[76:77], v[48:49], v[40:41]
	v_add_f64_e64 v[48:49], v[46:47], -v[0:1]
	v_add_f64_e32 v[159:160], v[38:39], v[42:43]
	s_delay_alu instid0(VALU_DEP_4) | instskip(NEXT) | instid1(VALU_DEP_4)
	v_mul_f64_e32 v[157:158], s[26:27], v[152:153]
	v_add_f64_e32 v[154:155], v[36:37], v[40:41]
	s_delay_alu instid0(VALU_DEP_4)
	v_mul_f64_e32 v[50:51], s[30:31], v[48:49]
	v_mul_f64_e32 v[52:53], s[22:23], v[48:49]
	;; [unrolled: 1-line block ×6, first 2 shown]
	v_add_f64_e64 v[161:162], v[36:37], -v[40:41]
	v_mul_f64_e32 v[163:164], s[20:21], v[159:160]
	v_mul_f64_e32 v[181:182], s[44:45], v[152:153]
	;; [unrolled: 1-line block ×9, first 2 shown]
	v_fma_f64 v[62:63], v[60:61], s[16:17], v[50:51]
	v_fma_f64 v[50:51], v[60:61], s[16:17], -v[50:51]
	v_fma_f64 v[64:65], v[60:61], s[2:3], v[52:53]
	v_fma_f64 v[52:53], v[60:61], s[2:3], -v[52:53]
	;; [unrolled: 2-line block ×6, first 2 shown]
	v_add_f64_e32 v[48:49], v[46:47], v[0:1]
	s_delay_alu instid0(VALU_DEP_1)
	v_mul_f64_e32 v[54:55], s[16:17], v[48:49]
	v_mul_f64_e32 v[56:57], s[2:3], v[48:49]
	;; [unrolled: 1-line block ×6, first 2 shown]
	v_fma_f64 v[86:87], v[84:85], s[30:31], v[54:55]
	v_fma_f64 v[54:55], v[84:85], s[44:45], v[54:55]
	;; [unrolled: 1-line block ×12, first 2 shown]
	ds_load_b128 v[56:59], v239
	s_wait_dscnt 0x0
	v_add_f64_e32 v[44:45], v[56:57], v[44:45]
	v_add_f64_e32 v[46:47], v[58:59], v[46:47]
	;; [unrolled: 1-line block ×27, first 2 shown]
	v_mul_f64_e32 v[58:59], s[22:23], v[116:117]
	v_mul_f64_e32 v[66:67], s[28:29], v[120:121]
	v_add_f64_e32 v[4:5], v[46:47], v[4:5]
	s_delay_alu instid0(VALU_DEP_3) | instskip(NEXT) | instid1(VALU_DEP_2)
	v_fma_f64 v[60:61], v[56:57], s[2:3], -v[58:59]
	v_add_f64_e32 v[4:5], v[4:5], v[18:19]
	s_delay_alu instid0(VALU_DEP_2) | instskip(SKIP_4) | instid1(VALU_DEP_4)
	v_add_f64_e32 v[76:77], v[60:61], v[62:63]
	v_add_f64_e64 v[60:61], v[10:11], -v[8:9]
	v_mul_f64_e32 v[62:63], s[2:3], v[118:119]
	v_add_f64_e32 v[10:11], v[44:45], v[10:11]
	v_add_f64_e32 v[4:5], v[4:5], v[26:27]
	v_fma_f64 v[82:83], v[60:61], s[38:39], v[167:168]
	s_delay_alu instid0(VALU_DEP_4) | instskip(NEXT) | instid1(VALU_DEP_4)
	v_fma_f64 v[64:65], v[60:61], s[22:23], v[62:63]
	v_add_f64_e32 v[10:11], v[10:11], v[16:17]
	s_delay_alu instid0(VALU_DEP_4) | instskip(NEXT) | instid1(VALU_DEP_4)
	v_add_f64_e32 v[4:5], v[4:5], v[34:35]
	v_add_f64_e32 v[82:83], v[82:83], v[88:89]
	s_delay_alu instid0(VALU_DEP_4) | instskip(SKIP_4) | instid1(VALU_DEP_4)
	v_add_f64_e32 v[78:79], v[64:65], v[86:87]
	v_add_f64_e32 v[64:65], v[16:17], v[12:13]
	v_fma_f64 v[86:87], v[60:61], s[34:35], v[187:188]
	v_add_f64_e32 v[10:11], v[10:11], v[24:25]
	v_add_f64_e32 v[4:5], v[4:5], v[38:39]
	v_fma_f64 v[80:81], v[64:65], s[8:9], -v[66:67]
	v_fma_f64 v[84:85], v[64:65], s[20:21], v[169:170]
	v_fma_f64 v[88:89], v[64:65], s[0:1], v[189:190]
	v_add_f64_e32 v[86:87], v[86:87], v[92:93]
	v_fma_f64 v[92:93], v[64:65], s[16:17], v[209:210]
	v_add_f64_e32 v[10:11], v[10:11], v[30:31]
	v_add_f64_e32 v[4:5], v[4:5], v[42:43]
	;; [unrolled: 1-line block ×3, first 2 shown]
	v_fma_f64 v[80:81], v[124:125], s[28:29], v[126:127]
	s_delay_alu instid0(VALU_DEP_4) | instskip(NEXT) | instid1(VALU_DEP_4)
	v_add_f64_e32 v[10:11], v[10:11], v[36:37]
	v_add_f64_e32 v[4:5], v[4:5], v[32:33]
	s_delay_alu instid0(VALU_DEP_3) | instskip(SKIP_1) | instid1(VALU_DEP_4)
	v_add_f64_e32 v[78:79], v[80:81], v[78:79]
	v_fma_f64 v[80:81], v[130:131], s[0:1], -v[132:133]
	v_add_f64_e32 v[10:11], v[10:11], v[40:41]
	s_delay_alu instid0(VALU_DEP_4) | instskip(NEXT) | instid1(VALU_DEP_3)
	v_add_f64_e32 v[4:5], v[4:5], v[22:23]
	v_add_f64_e32 v[76:77], v[80:81], v[76:77]
	v_fma_f64 v[80:81], v[136:137], s[18:19], v[138:139]
	s_delay_alu instid0(VALU_DEP_4) | instskip(NEXT) | instid1(VALU_DEP_4)
	v_add_f64_e32 v[10:11], v[10:11], v[28:29]
	v_add_f64_e32 v[4:5], v[4:5], v[14:15]
	s_delay_alu instid0(VALU_DEP_3) | instskip(SKIP_1) | instid1(VALU_DEP_4)
	v_add_f64_e32 v[78:79], v[80:81], v[78:79]
	v_fma_f64 v[80:81], v[142:143], s[10:11], -v[144:145]
	v_add_f64_e32 v[10:11], v[10:11], v[20:21]
	s_delay_alu instid0(VALU_DEP_4) | instskip(NEXT) | instid1(VALU_DEP_3)
	v_add_f64_e32 v[4:5], v[4:5], v[6:7]
	v_add_f64_e32 v[76:77], v[80:81], v[76:77]
	v_fma_f64 v[80:81], v[148:149], s[24:25], v[150:151]
	s_delay_alu instid0(VALU_DEP_4) | instskip(NEXT) | instid1(VALU_DEP_4)
	v_add_f64_e32 v[10:11], v[10:11], v[12:13]
	v_add_f64_e32 v[4:5], v[4:5], v[0:1]
	s_delay_alu instid0(VALU_DEP_3) | instskip(SKIP_1) | instid1(VALU_DEP_4)
	v_add_f64_e32 v[78:79], v[80:81], v[78:79]
	v_fma_f64 v[80:81], v[154:155], s[20:21], -v[157:158]
	v_add_f64_e32 v[8:9], v[10:11], v[8:9]
	s_delay_alu instid0(VALU_DEP_2) | instskip(SKIP_1) | instid1(VALU_DEP_3)
	v_add_f64_e32 v[76:77], v[80:81], v[76:77]
	v_fma_f64 v[80:81], v[161:162], s[26:27], v[163:164]
	v_add_f64_e32 v[2:3], v[8:9], v[2:3]
	s_delay_alu instid0(VALU_DEP_2) | instskip(SKIP_1) | instid1(VALU_DEP_1)
	v_add_f64_e32 v[78:79], v[80:81], v[78:79]
	v_fma_f64 v[80:81], v[56:57], s[0:1], v[165:166]
	v_add_f64_e32 v[80:81], v[80:81], v[104:105]
	v_mul_f64_e32 v[104:105], s[40:41], v[116:117]
	s_delay_alu instid0(VALU_DEP_2) | instskip(SKIP_1) | instid1(VALU_DEP_1)
	v_add_f64_e32 v[80:81], v[84:85], v[80:81]
	v_fma_f64 v[84:85], v[124:125], s[34:35], v[171:172]
	v_add_f64_e32 v[82:83], v[84:85], v[82:83]
	v_fma_f64 v[84:85], v[130:131], s[10:11], v[173:174]
	s_delay_alu instid0(VALU_DEP_1) | instskip(SKIP_1) | instid1(VALU_DEP_1)
	v_add_f64_e32 v[80:81], v[84:85], v[80:81]
	v_fma_f64 v[84:85], v[136:137], s[24:25], v[175:176]
	v_add_f64_e32 v[82:83], v[84:85], v[82:83]
	v_fma_f64 v[84:85], v[142:143], s[8:9], v[177:178]
	s_delay_alu instid0(VALU_DEP_1) | instskip(SKIP_1) | instid1(VALU_DEP_1)
	;; [unrolled: 5-line block ×3, first 2 shown]
	v_add_f64_e32 v[80:81], v[84:85], v[80:81]
	v_fma_f64 v[84:85], v[161:162], s[30:31], v[183:184]
	v_add_f64_e32 v[82:83], v[84:85], v[82:83]
	v_fma_f64 v[84:85], v[56:57], s[20:21], v[185:186]
	s_delay_alu instid0(VALU_DEP_1) | instskip(SKIP_1) | instid1(VALU_DEP_2)
	v_add_f64_e32 v[84:85], v[84:85], v[90:91]
	v_fma_f64 v[90:91], v[60:61], s[24:25], v[207:208]
	v_add_f64_e32 v[84:85], v[88:89], v[84:85]
	v_fma_f64 v[88:89], v[124:125], s[18:19], v[191:192]
	s_delay_alu instid0(VALU_DEP_3) | instskip(SKIP_1) | instid1(VALU_DEP_3)
	v_add_f64_e32 v[90:91], v[90:91], v[96:97]
	v_fma_f64 v[96:97], v[64:65], s[2:3], v[227:228]
	v_add_f64_e32 v[86:87], v[88:89], v[86:87]
	v_fma_f64 v[88:89], v[130:131], s[16:17], v[193:194]
	s_delay_alu instid0(VALU_DEP_1) | instskip(SKIP_1) | instid1(VALU_DEP_1)
	v_add_f64_e32 v[84:85], v[88:89], v[84:85]
	v_fma_f64 v[88:89], v[136:137], s[30:31], v[195:196]
	v_add_f64_e32 v[86:87], v[88:89], v[86:87]
	v_fma_f64 v[88:89], v[142:143], s[2:3], v[197:198]
	s_delay_alu instid0(VALU_DEP_1) | instskip(SKIP_1) | instid1(VALU_DEP_1)
	;; [unrolled: 5-line block ×3, first 2 shown]
	v_add_f64_e32 v[84:85], v[88:89], v[84:85]
	v_fma_f64 v[88:89], v[161:162], s[36:37], v[203:204]
	v_add_f64_e32 v[86:87], v[88:89], v[86:87]
	v_fma_f64 v[88:89], v[56:57], s[10:11], v[205:206]
	s_delay_alu instid0(VALU_DEP_1) | instskip(SKIP_1) | instid1(VALU_DEP_2)
	v_add_f64_e32 v[88:89], v[88:89], v[94:95]
	v_fma_f64 v[94:95], v[60:61], s[28:29], v[225:226]
	v_add_f64_e32 v[88:89], v[92:93], v[88:89]
	v_fma_f64 v[92:93], v[124:125], s[30:31], v[211:212]
	s_delay_alu instid0(VALU_DEP_3) | instskip(SKIP_1) | instid1(VALU_DEP_3)
	v_add_f64_e32 v[94:95], v[94:95], v[100:101]
	v_mul_f64_e32 v[100:101], s[44:45], v[116:117]
	v_add_f64_e32 v[90:91], v[92:93], v[90:91]
	v_fma_f64 v[92:93], v[130:131], s[8:9], v[213:214]
	s_delay_alu instid0(VALU_DEP_1) | instskip(SKIP_1) | instid1(VALU_DEP_1)
	v_add_f64_e32 v[88:89], v[92:93], v[88:89]
	v_fma_f64 v[92:93], v[136:137], s[40:41], v[215:216]
	v_add_f64_e32 v[90:91], v[92:93], v[90:91]
	v_fma_f64 v[92:93], v[142:143], s[20:21], v[217:218]
	s_delay_alu instid0(VALU_DEP_1) | instskip(SKIP_1) | instid1(VALU_DEP_1)
	v_add_f64_e32 v[88:89], v[92:93], v[88:89]
	v_fma_f64 v[92:93], v[148:149], s[26:27], v[219:220]
	;; [unrolled: 5-line block ×3, first 2 shown]
	v_add_f64_e32 v[90:91], v[92:93], v[90:91]
	v_fma_f64 v[92:93], v[56:57], s[8:9], v[104:105]
	v_fma_f64 v[104:105], v[56:57], s[8:9], -v[104:105]
	s_delay_alu instid0(VALU_DEP_2) | instskip(NEXT) | instid1(VALU_DEP_2)
	v_add_f64_e32 v[92:93], v[92:93], v[98:99]
	v_add_f64_e32 v[104:105], v[104:105], v[106:107]
	v_fma_f64 v[106:107], v[60:61], s[40:41], v[225:226]
	s_delay_alu instid0(VALU_DEP_3) | instskip(SKIP_1) | instid1(VALU_DEP_3)
	v_add_f64_e32 v[92:93], v[96:97], v[92:93]
	v_fma_f64 v[96:97], v[124:125], s[42:43], v[229:230]
	v_add_f64_e32 v[106:107], v[106:107], v[108:109]
	v_fma_f64 v[108:109], v[64:65], s[2:3], -v[227:228]
	s_delay_alu instid0(VALU_DEP_3) | instskip(SKIP_1) | instid1(VALU_DEP_3)
	v_add_f64_e32 v[94:95], v[96:97], v[94:95]
	v_fma_f64 v[96:97], v[130:131], s[20:21], v[231:232]
	v_add_f64_e32 v[104:105], v[108:109], v[104:105]
	v_fma_f64 v[108:109], v[124:125], s[22:23], v[229:230]
	s_delay_alu instid0(VALU_DEP_3) | instskip(SKIP_1) | instid1(VALU_DEP_3)
	v_add_f64_e32 v[92:93], v[96:97], v[92:93]
	v_fma_f64 v[96:97], v[136:137], s[26:27], v[233:234]
	v_add_f64_e32 v[106:107], v[108:109], v[106:107]
	v_fma_f64 v[108:109], v[130:131], s[20:21], -v[231:232]
	s_delay_alu instid0(VALU_DEP_3) | instskip(SKIP_1) | instid1(VALU_DEP_3)
	v_add_f64_e32 v[94:95], v[96:97], v[94:95]
	v_fma_f64 v[96:97], v[142:143], s[16:17], v[235:236]
	;; [unrolled: 10-line block ×3, first 2 shown]
	v_add_f64_e32 v[104:105], v[108:109], v[104:105]
	v_fma_f64 v[108:109], v[148:149], s[44:45], v[237:238]
	s_delay_alu instid0(VALU_DEP_3) | instskip(SKIP_1) | instid1(VALU_DEP_3)
	v_add_f64_e32 v[92:93], v[96:97], v[92:93]
	v_fma_f64 v[96:97], v[161:162], s[38:39], v[243:244]
	v_add_f64_e32 v[106:107], v[108:109], v[106:107]
	v_fma_f64 v[108:109], v[154:155], s[0:1], -v[241:242]
	s_delay_alu instid0(VALU_DEP_3) | instskip(SKIP_2) | instid1(VALU_DEP_4)
	v_add_f64_e32 v[94:95], v[96:97], v[94:95]
	v_fma_f64 v[96:97], v[56:57], s[16:17], v[100:101]
	v_fma_f64 v[100:101], v[56:57], s[16:17], -v[100:101]
	v_add_f64_e32 v[104:105], v[108:109], v[104:105]
	v_fma_f64 v[108:109], v[56:57], s[10:11], -v[205:206]
	s_delay_alu instid0(VALU_DEP_4) | instskip(SKIP_2) | instid1(VALU_DEP_4)
	v_add_f64_e32 v[96:97], v[96:97], v[110:111]
	v_mul_f64_e32 v[110:111], s[16:17], v[118:119]
	v_add_f64_e32 v[100:101], v[100:101], v[112:113]
	v_add_f64_e32 v[74:75], v[108:109], v[74:75]
	v_fma_f64 v[108:109], v[60:61], s[36:37], v[207:208]
	s_delay_alu instid0(VALU_DEP_4) | instskip(SKIP_1) | instid1(VALU_DEP_3)
	v_fma_f64 v[98:99], v[60:61], s[30:31], v[110:111]
	v_fma_f64 v[110:111], v[60:61], s[44:45], v[110:111]
	v_add_f64_e32 v[72:73], v[108:109], v[72:73]
	v_fma_f64 v[108:109], v[64:65], s[16:17], -v[209:210]
	s_delay_alu instid0(VALU_DEP_4) | instskip(SKIP_2) | instid1(VALU_DEP_4)
	v_add_f64_e32 v[98:99], v[98:99], v[102:103]
	v_mul_f64_e32 v[102:103], s[24:25], v[120:121]
	v_add_f64_e32 v[110:111], v[110:111], v[114:115]
	v_add_f64_e32 v[74:75], v[108:109], v[74:75]
	v_fma_f64 v[108:109], v[124:125], s[44:45], v[211:212]
	s_delay_alu instid0(VALU_DEP_4) | instskip(SKIP_1) | instid1(VALU_DEP_3)
	v_fma_f64 v[116:117], v[64:65], s[10:11], v[102:103]
	v_fma_f64 v[102:103], v[64:65], s[10:11], -v[102:103]
	v_add_f64_e32 v[72:73], v[108:109], v[72:73]
	v_fma_f64 v[108:109], v[130:131], s[8:9], -v[213:214]
	s_delay_alu instid0(VALU_DEP_4) | instskip(SKIP_2) | instid1(VALU_DEP_4)
	v_add_f64_e32 v[96:97], v[116:117], v[96:97]
	v_mul_f64_e32 v[116:117], s[10:11], v[122:123]
	v_add_f64_e32 v[100:101], v[102:103], v[100:101]
	v_add_f64_e32 v[74:75], v[108:109], v[74:75]
	v_fma_f64 v[108:109], v[136:137], s[28:29], v[215:216]
	s_delay_alu instid0(VALU_DEP_4) | instskip(SKIP_1) | instid1(VALU_DEP_3)
	v_fma_f64 v[118:119], v[124:125], s[36:37], v[116:117]
	v_fma_f64 v[102:103], v[124:125], s[24:25], v[116:117]
	v_add_f64_e32 v[72:73], v[108:109], v[72:73]
	v_fma_f64 v[108:109], v[142:143], s[20:21], -v[217:218]
	s_delay_alu instid0(VALU_DEP_4) | instskip(SKIP_2) | instid1(VALU_DEP_4)
	v_add_f64_e32 v[98:99], v[118:119], v[98:99]
	v_mul_f64_e32 v[118:119], s[42:43], v[128:129]
	v_add_f64_e32 v[102:103], v[102:103], v[110:111]
	v_add_f64_e32 v[74:75], v[108:109], v[74:75]
	v_fma_f64 v[108:109], v[148:149], s[34:35], v[219:220]
	s_delay_alu instid0(VALU_DEP_4) | instskip(SKIP_1) | instid1(VALU_DEP_3)
	v_fma_f64 v[120:121], v[130:131], s[2:3], v[118:119]
	v_fma_f64 v[110:111], v[130:131], s[2:3], -v[118:119]
	v_add_f64_e32 v[108:109], v[108:109], v[72:73]
	v_fma_f64 v[72:73], v[154:155], s[2:3], -v[221:222]
	s_delay_alu instid0(VALU_DEP_4) | instskip(SKIP_2) | instid1(VALU_DEP_4)
	v_add_f64_e32 v[96:97], v[120:121], v[96:97]
	v_mul_f64_e32 v[120:121], s[2:3], v[134:135]
	v_add_f64_e32 v[100:101], v[110:111], v[100:101]
	v_add_f64_e32 v[72:73], v[72:73], v[74:75]
	s_delay_alu instid0(VALU_DEP_3) | instskip(SKIP_1) | instid1(VALU_DEP_2)
	v_fma_f64 v[122:123], v[136:137], s[22:23], v[120:121]
	v_fma_f64 v[110:111], v[136:137], s[42:43], v[120:121]
	v_add_f64_e32 v[98:99], v[122:123], v[98:99]
	v_mul_f64_e32 v[122:123], s[18:19], v[140:141]
	s_delay_alu instid0(VALU_DEP_3) | instskip(SKIP_1) | instid1(VALU_DEP_3)
	v_add_f64_e32 v[102:103], v[110:111], v[102:103]
	v_mul_f64_e32 v[140:141], s[8:9], v[159:160]
	v_fma_f64 v[128:129], v[142:143], s[0:1], v[122:123]
	v_fma_f64 v[110:111], v[142:143], s[0:1], -v[122:123]
	s_delay_alu instid0(VALU_DEP_3) | instskip(NEXT) | instid1(VALU_DEP_3)
	v_fma_f64 v[112:113], v[161:162], s[40:41], v[140:141]
	v_add_f64_e32 v[96:97], v[128:129], v[96:97]
	v_mul_f64_e32 v[128:129], s[0:1], v[146:147]
	s_delay_alu instid0(VALU_DEP_4) | instskip(NEXT) | instid1(VALU_DEP_2)
	v_add_f64_e32 v[100:101], v[110:111], v[100:101]
	v_fma_f64 v[134:135], v[148:149], s[38:39], v[128:129]
	v_fma_f64 v[110:111], v[148:149], s[18:19], v[128:129]
	s_delay_alu instid0(VALU_DEP_2) | instskip(SKIP_1) | instid1(VALU_DEP_3)
	v_add_f64_e32 v[98:99], v[134:135], v[98:99]
	v_mul_f64_e32 v[134:135], s[40:41], v[152:153]
	v_add_f64_e32 v[102:103], v[110:111], v[102:103]
	s_delay_alu instid0(VALU_DEP_2) | instskip(SKIP_1) | instid1(VALU_DEP_3)
	v_fma_f64 v[110:111], v[154:155], s[8:9], -v[134:135]
	v_fma_f64 v[146:147], v[154:155], s[8:9], v[134:135]
	v_add_f64_e32 v[102:103], v[112:113], v[102:103]
	s_delay_alu instid0(VALU_DEP_3) | instskip(SKIP_1) | instid1(VALU_DEP_4)
	v_add_f64_e32 v[100:101], v[110:111], v[100:101]
	v_fma_f64 v[110:111], v[161:162], s[18:19], v[243:244]
	v_add_f64_e32 v[96:97], v[146:147], v[96:97]
	v_fma_f64 v[146:147], v[161:162], s[28:29], v[140:141]
	s_delay_alu instid0(VALU_DEP_3) | instskip(SKIP_1) | instid1(VALU_DEP_3)
	v_add_f64_e32 v[106:107], v[110:111], v[106:107]
	v_fma_f64 v[110:111], v[161:162], s[42:43], v[223:224]
	v_add_f64_e32 v[98:99], v[146:147], v[98:99]
	s_delay_alu instid0(VALU_DEP_2) | instskip(SKIP_2) | instid1(VALU_DEP_2)
	v_add_f64_e32 v[74:75], v[110:111], v[108:109]
	v_fma_f64 v[108:109], v[56:57], s[20:21], -v[185:186]
	v_fma_f64 v[110:111], v[161:162], s[24:25], v[203:204]
	v_add_f64_e32 v[70:71], v[108:109], v[70:71]
	v_fma_f64 v[108:109], v[60:61], s[26:27], v[187:188]
	s_delay_alu instid0(VALU_DEP_1) | instskip(SKIP_1) | instid1(VALU_DEP_1)
	v_add_f64_e32 v[68:69], v[108:109], v[68:69]
	v_fma_f64 v[108:109], v[64:65], s[0:1], -v[189:190]
	v_add_f64_e32 v[70:71], v[108:109], v[70:71]
	v_fma_f64 v[108:109], v[124:125], s[38:39], v[191:192]
	s_delay_alu instid0(VALU_DEP_1) | instskip(SKIP_1) | instid1(VALU_DEP_1)
	v_add_f64_e32 v[68:69], v[108:109], v[68:69]
	v_fma_f64 v[108:109], v[130:131], s[16:17], -v[193:194]
	;; [unrolled: 5-line block ×4, first 2 shown]
	v_add_f64_e32 v[68:69], v[68:69], v[70:71]
	s_delay_alu instid0(VALU_DEP_3) | instskip(SKIP_4) | instid1(VALU_DEP_4)
	v_add_f64_e32 v[70:71], v[110:111], v[108:109]
	v_fma_f64 v[108:109], v[56:57], s[0:1], -v[165:166]
	v_fma_f64 v[56:57], v[56:57], s[2:3], v[58:59]
	v_fma_f64 v[58:59], v[60:61], s[42:43], v[62:63]
	;; [unrolled: 1-line block ×3, first 2 shown]
	v_add_f64_e32 v[54:55], v[108:109], v[54:55]
	v_fma_f64 v[108:109], v[60:61], s[18:19], v[167:168]
	v_fma_f64 v[60:61], v[64:65], s[8:9], v[66:67]
	v_add_f64_e32 v[48:49], v[56:57], v[48:49]
	v_fma_f64 v[56:57], v[124:125], s[40:41], v[126:127]
	v_add_f64_e32 v[50:51], v[58:59], v[50:51]
	v_fma_f64 v[58:59], v[130:131], s[0:1], v[132:133]
	s_and_b32 s0, exec_lo, vcc_lo
	v_add_f64_e32 v[52:53], v[108:109], v[52:53]
	v_fma_f64 v[108:109], v[64:65], s[20:21], -v[169:170]
	v_add_f64_e32 v[48:49], v[60:61], v[48:49]
	v_fma_f64 v[60:61], v[136:137], s[38:39], v[138:139]
	v_add_f64_e32 v[50:51], v[56:57], v[50:51]
	v_fma_f64 v[56:57], v[142:143], s[10:11], v[144:145]
	;; [unrolled: 2-line block ×5, first 2 shown]
	v_add_f64_e32 v[52:53], v[108:109], v[52:53]
	v_fma_f64 v[108:109], v[130:131], s[10:11], -v[173:174]
	v_add_f64_e32 v[48:49], v[56:57], v[48:49]
	v_fma_f64 v[56:57], v[161:162], s[34:35], v[163:164]
	v_add_f64_e32 v[50:51], v[58:59], v[50:51]
	s_delay_alu instid0(VALU_DEP_4) | instskip(SKIP_2) | instid1(VALU_DEP_4)
	v_add_f64_e32 v[54:55], v[108:109], v[54:55]
	v_fma_f64 v[108:109], v[136:137], s[36:37], v[175:176]
	v_add_f64_e32 v[48:49], v[60:61], v[48:49]
	v_add_f64_e32 v[50:51], v[56:57], v[50:51]
	s_delay_alu instid0(VALU_DEP_3) | instskip(SKIP_1) | instid1(VALU_DEP_1)
	v_add_f64_e32 v[52:53], v[108:109], v[52:53]
	v_fma_f64 v[108:109], v[142:143], s[8:9], -v[177:178]
	v_add_f64_e32 v[54:55], v[108:109], v[54:55]
	v_fma_f64 v[108:109], v[148:149], s[40:41], v[179:180]
	s_delay_alu instid0(VALU_DEP_1) | instskip(SKIP_1) | instid1(VALU_DEP_1)
	v_add_f64_e32 v[108:109], v[108:109], v[52:53]
	v_fma_f64 v[52:53], v[154:155], s[16:17], -v[181:182]
	v_add_f64_e32 v[52:53], v[52:53], v[54:55]
	s_delay_alu instid0(VALU_DEP_3)
	v_add_f64_e32 v[54:55], v[110:111], v[108:109]
	ds_store_b128 v240, v[80:83] offset:1088
	ds_store_b128 v240, v[84:87] offset:1632
	;; [unrolled: 1-line block ×12, first 2 shown]
	ds_store_b128 v240, v[2:5]
	global_wb scope:SCOPE_SE
	s_wait_dscnt 0x0
	s_barrier_signal -1
	s_barrier_wait -1
	global_inv scope:SCOPE_SE
	scratch_load_b64 v[14:15], off, off offset:52 ; 8-byte Folded Reload
	s_wait_alu 0xfffe
	s_mov_b32 exec_lo, s0
	s_cbranch_execz .LBB0_23
; %bb.22:
	scratch_load_b32 v18, off, off offset:60 th:TH_LOAD_LU ; 4-byte Folded Reload
	s_mov_b32 s0, 0x1288b013
	s_mov_b32 s1, 0x3f6288b0
	s_mul_u64 s[2:3], s[4:5], 0x1a0
	s_wait_loadcnt 0x0
	global_load_b128 v[0:3], v18, s[12:13]
	ds_load_b128 v[4:7], v240
	ds_load_b128 v[8:11], v240 offset:416
	s_wait_loadcnt_dscnt 0x1
	v_mul_f64_e32 v[12:13], v[6:7], v[2:3]
	v_mul_f64_e32 v[2:3], v[4:5], v[2:3]
	s_delay_alu instid0(VALU_DEP_2) | instskip(NEXT) | instid1(VALU_DEP_2)
	v_fma_f64 v[4:5], v[4:5], v[0:1], v[12:13]
	v_fma_f64 v[0:1], v[0:1], v[6:7], -v[2:3]
	v_mad_co_u64_u32 v[6:7], null, s6, v14, 0
	v_mad_co_u64_u32 v[12:13], null, s4, v156, 0
	s_wait_alu 0xfffe
	s_delay_alu instid0(VALU_DEP_4) | instskip(NEXT) | instid1(VALU_DEP_4)
	v_mul_f64_e32 v[2:3], s[0:1], v[4:5]
	v_mul_f64_e32 v[4:5], s[0:1], v[0:1]
	s_delay_alu instid0(VALU_DEP_3) | instskip(NEXT) | instid1(VALU_DEP_1)
	v_dual_mov_b32 v0, v7 :: v_dual_mov_b32 v1, v13
	v_mad_co_u64_u32 v[13:14], null, s7, v14, v[0:1]
	s_delay_alu instid0(VALU_DEP_1) | instskip(SKIP_1) | instid1(VALU_DEP_1)
	v_mov_b32_e32 v7, v13
	v_mad_co_u64_u32 v[0:1], null, s5, v156, v[1:2]
	v_mov_b32_e32 v13, v0
	s_delay_alu instid0(VALU_DEP_3) | instskip(NEXT) | instid1(VALU_DEP_2)
	v_lshlrev_b64_e32 v[0:1], 4, v[6:7]
	v_lshlrev_b64_e32 v[6:7], 4, v[12:13]
	s_delay_alu instid0(VALU_DEP_2) | instskip(NEXT) | instid1(VALU_DEP_3)
	v_add_co_u32 v0, vcc_lo, s14, v0
	v_add_co_ci_u32_e32 v1, vcc_lo, s15, v1, vcc_lo
	s_delay_alu instid0(VALU_DEP_2) | instskip(SKIP_1) | instid1(VALU_DEP_2)
	v_add_co_u32 v6, vcc_lo, v0, v6
	s_wait_alu 0xfffd
	v_add_co_ci_u32_e32 v7, vcc_lo, v1, v7, vcc_lo
	s_delay_alu instid0(VALU_DEP_2)
	v_add_co_u32 v14, vcc_lo, v6, s2
	global_store_b128 v[6:7], v[2:5], off
	global_load_b128 v[2:5], v18, s[12:13] offset:416
	s_wait_alu 0xfffd
	v_add_co_ci_u32_e32 v15, vcc_lo, s3, v7, vcc_lo
	s_wait_loadcnt_dscnt 0x0
	v_mul_f64_e32 v[12:13], v[10:11], v[4:5]
	v_mul_f64_e32 v[4:5], v[8:9], v[4:5]
	s_delay_alu instid0(VALU_DEP_2) | instskip(NEXT) | instid1(VALU_DEP_2)
	v_fma_f64 v[8:9], v[8:9], v[2:3], v[12:13]
	v_fma_f64 v[4:5], v[2:3], v[10:11], -v[4:5]
	s_delay_alu instid0(VALU_DEP_2) | instskip(NEXT) | instid1(VALU_DEP_2)
	v_mul_f64_e32 v[2:3], s[0:1], v[8:9]
	v_mul_f64_e32 v[4:5], s[0:1], v[4:5]
	global_store_b128 v[14:15], v[2:5], off
	global_load_b128 v[2:5], v18, s[12:13] offset:832
	ds_load_b128 v[6:9], v240 offset:832
	ds_load_b128 v[10:13], v240 offset:1248
	s_wait_loadcnt_dscnt 0x1
	v_mul_f64_e32 v[16:17], v[8:9], v[4:5]
	v_mul_f64_e32 v[4:5], v[6:7], v[4:5]
	s_delay_alu instid0(VALU_DEP_2) | instskip(NEXT) | instid1(VALU_DEP_2)
	v_fma_f64 v[6:7], v[6:7], v[2:3], v[16:17]
	v_fma_f64 v[4:5], v[2:3], v[8:9], -v[4:5]
	s_delay_alu instid0(VALU_DEP_2) | instskip(NEXT) | instid1(VALU_DEP_2)
	v_mul_f64_e32 v[2:3], s[0:1], v[6:7]
	v_mul_f64_e32 v[4:5], s[0:1], v[4:5]
	v_add_co_u32 v6, vcc_lo, v14, s2
	s_wait_alu 0xfffd
	v_add_co_ci_u32_e32 v7, vcc_lo, s3, v15, vcc_lo
	s_delay_alu instid0(VALU_DEP_2) | instskip(SKIP_1) | instid1(VALU_DEP_2)
	v_add_co_u32 v14, vcc_lo, v6, s2
	s_wait_alu 0xfffd
	v_add_co_ci_u32_e32 v15, vcc_lo, s3, v7, vcc_lo
	global_store_b128 v[6:7], v[2:5], off
	global_load_b128 v[2:5], v18, s[12:13] offset:1248
	s_wait_loadcnt_dscnt 0x0
	v_mul_f64_e32 v[8:9], v[12:13], v[4:5]
	v_mul_f64_e32 v[4:5], v[10:11], v[4:5]
	s_delay_alu instid0(VALU_DEP_2) | instskip(NEXT) | instid1(VALU_DEP_2)
	v_fma_f64 v[8:9], v[10:11], v[2:3], v[8:9]
	v_fma_f64 v[4:5], v[2:3], v[12:13], -v[4:5]
	s_delay_alu instid0(VALU_DEP_2) | instskip(NEXT) | instid1(VALU_DEP_2)
	v_mul_f64_e32 v[2:3], s[0:1], v[8:9]
	v_mul_f64_e32 v[4:5], s[0:1], v[4:5]
	global_store_b128 v[14:15], v[2:5], off
	global_load_b128 v[2:5], v18, s[12:13] offset:1664
	ds_load_b128 v[6:9], v240 offset:1664
	ds_load_b128 v[10:13], v240 offset:2080
	s_wait_loadcnt_dscnt 0x1
	v_mul_f64_e32 v[16:17], v[8:9], v[4:5]
	v_mul_f64_e32 v[4:5], v[6:7], v[4:5]
	s_delay_alu instid0(VALU_DEP_2) | instskip(NEXT) | instid1(VALU_DEP_2)
	v_fma_f64 v[6:7], v[6:7], v[2:3], v[16:17]
	v_fma_f64 v[4:5], v[2:3], v[8:9], -v[4:5]
	s_delay_alu instid0(VALU_DEP_2) | instskip(NEXT) | instid1(VALU_DEP_2)
	v_mul_f64_e32 v[2:3], s[0:1], v[6:7]
	v_mul_f64_e32 v[4:5], s[0:1], v[4:5]
	v_add_co_u32 v6, vcc_lo, v14, s2
	s_wait_alu 0xfffd
	v_add_co_ci_u32_e32 v7, vcc_lo, s3, v15, vcc_lo
	s_delay_alu instid0(VALU_DEP_2) | instskip(SKIP_1) | instid1(VALU_DEP_2)
	v_add_co_u32 v14, vcc_lo, v6, s2
	s_wait_alu 0xfffd
	v_add_co_ci_u32_e32 v15, vcc_lo, s3, v7, vcc_lo
	global_store_b128 v[6:7], v[2:5], off
	global_load_b128 v[2:5], v18, s[12:13] offset:2080
	;; [unrolled: 31-line block ×6, first 2 shown]
	s_wait_loadcnt_dscnt 0x0
	v_mul_f64_e32 v[8:9], v[12:13], v[4:5]
	v_mul_f64_e32 v[4:5], v[10:11], v[4:5]
	s_delay_alu instid0(VALU_DEP_2) | instskip(NEXT) | instid1(VALU_DEP_2)
	v_fma_f64 v[8:9], v[10:11], v[2:3], v[8:9]
	v_fma_f64 v[4:5], v[2:3], v[12:13], -v[4:5]
	s_delay_alu instid0(VALU_DEP_2) | instskip(NEXT) | instid1(VALU_DEP_2)
	v_mul_f64_e32 v[2:3], s[0:1], v[8:9]
	v_mul_f64_e32 v[4:5], s[0:1], v[4:5]
	global_store_b128 v[14:15], v[2:5], off
	global_load_b128 v[2:5], v18, s[12:13] offset:5824
	ds_load_b128 v[6:9], v240 offset:5824
	ds_load_b128 v[10:13], v240 offset:6240
	s_wait_loadcnt_dscnt 0x1
	v_mul_f64_e32 v[16:17], v[8:9], v[4:5]
	v_mul_f64_e32 v[4:5], v[6:7], v[4:5]
	s_delay_alu instid0(VALU_DEP_2) | instskip(NEXT) | instid1(VALU_DEP_2)
	v_fma_f64 v[6:7], v[6:7], v[2:3], v[16:17]
	v_fma_f64 v[4:5], v[2:3], v[8:9], -v[4:5]
	s_delay_alu instid0(VALU_DEP_2) | instskip(NEXT) | instid1(VALU_DEP_2)
	v_mul_f64_e32 v[2:3], s[0:1], v[6:7]
	v_mul_f64_e32 v[4:5], s[0:1], v[4:5]
	v_add_co_u32 v6, vcc_lo, v14, s2
	s_wait_alu 0xfffd
	v_add_co_ci_u32_e32 v7, vcc_lo, s3, v15, vcc_lo
	global_store_b128 v[6:7], v[2:5], off
	global_load_b128 v[2:5], v18, s[12:13] offset:6240
	v_add_co_u32 v6, vcc_lo, v6, s2
	s_wait_alu 0xfffd
	v_add_co_ci_u32_e32 v7, vcc_lo, s3, v7, vcc_lo
	s_wait_loadcnt_dscnt 0x0
	v_mul_f64_e32 v[8:9], v[12:13], v[4:5]
	v_mul_f64_e32 v[4:5], v[10:11], v[4:5]
	s_delay_alu instid0(VALU_DEP_2) | instskip(NEXT) | instid1(VALU_DEP_2)
	v_fma_f64 v[8:9], v[10:11], v[2:3], v[8:9]
	v_fma_f64 v[4:5], v[2:3], v[12:13], -v[4:5]
	s_delay_alu instid0(VALU_DEP_2) | instskip(NEXT) | instid1(VALU_DEP_2)
	v_mul_f64_e32 v[2:3], s[0:1], v[8:9]
	v_mul_f64_e32 v[4:5], s[0:1], v[4:5]
	global_store_b128 v[6:7], v[2:5], off
	global_load_b128 v[2:5], v18, s[12:13] offset:6656
	ds_load_b128 v[6:9], v240 offset:6656
	s_wait_loadcnt_dscnt 0x0
	v_mul_f64_e32 v[10:11], v[8:9], v[4:5]
	v_mul_f64_e32 v[4:5], v[6:7], v[4:5]
	s_delay_alu instid0(VALU_DEP_2) | instskip(SKIP_3) | instid1(VALU_DEP_2)
	v_fma_f64 v[6:7], v[6:7], v[2:3], v[10:11]
	scratch_load_b32 v10, off, off offset:368 th:TH_LOAD_LU ; 4-byte Folded Reload
	v_fma_f64 v[4:5], v[2:3], v[8:9], -v[4:5]
	v_mul_f64_e32 v[2:3], s[0:1], v[6:7]
	v_mul_f64_e32 v[4:5], s[0:1], v[4:5]
	s_wait_loadcnt 0x0
	v_mad_co_u64_u32 v[8:9], null, s4, v10, 0
	s_delay_alu instid0(VALU_DEP_1) | instskip(NEXT) | instid1(VALU_DEP_1)
	v_mov_b32_e32 v6, v9
	v_mad_co_u64_u32 v[6:7], null, s5, v10, v[6:7]
	s_delay_alu instid0(VALU_DEP_1) | instskip(NEXT) | instid1(VALU_DEP_1)
	v_mov_b32_e32 v9, v6
	v_lshlrev_b64_e32 v[6:7], 4, v[8:9]
	s_delay_alu instid0(VALU_DEP_1) | instskip(SKIP_1) | instid1(VALU_DEP_2)
	v_add_co_u32 v0, vcc_lo, v0, v6
	s_wait_alu 0xfffd
	v_add_co_ci_u32_e32 v1, vcc_lo, v1, v7, vcc_lo
	global_store_b128 v[0:1], v[2:5], off
.LBB0_23:
	s_nop 0
	s_sendmsg sendmsg(MSG_DEALLOC_VGPRS)
	s_endpgm
	.section	.rodata,"a",@progbits
	.p2align	6, 0x0
	.amdhsa_kernel bluestein_single_fwd_len442_dim1_dp_op_CI_CI
		.amdhsa_group_segment_fixed_size 49504
		.amdhsa_private_segment_fixed_size 408
		.amdhsa_kernarg_size 104
		.amdhsa_user_sgpr_count 2
		.amdhsa_user_sgpr_dispatch_ptr 0
		.amdhsa_user_sgpr_queue_ptr 0
		.amdhsa_user_sgpr_kernarg_segment_ptr 1
		.amdhsa_user_sgpr_dispatch_id 0
		.amdhsa_user_sgpr_private_segment_size 0
		.amdhsa_wavefront_size32 1
		.amdhsa_uses_dynamic_stack 0
		.amdhsa_enable_private_segment 1
		.amdhsa_system_sgpr_workgroup_id_x 1
		.amdhsa_system_sgpr_workgroup_id_y 0
		.amdhsa_system_sgpr_workgroup_id_z 0
		.amdhsa_system_sgpr_workgroup_info 0
		.amdhsa_system_vgpr_workitem_id 0
		.amdhsa_next_free_vgpr 256
		.amdhsa_next_free_sgpr 60
		.amdhsa_reserve_vcc 1
		.amdhsa_float_round_mode_32 0
		.amdhsa_float_round_mode_16_64 0
		.amdhsa_float_denorm_mode_32 3
		.amdhsa_float_denorm_mode_16_64 3
		.amdhsa_fp16_overflow 0
		.amdhsa_workgroup_processor_mode 1
		.amdhsa_memory_ordered 1
		.amdhsa_forward_progress 0
		.amdhsa_round_robin_scheduling 0
		.amdhsa_exception_fp_ieee_invalid_op 0
		.amdhsa_exception_fp_denorm_src 0
		.amdhsa_exception_fp_ieee_div_zero 0
		.amdhsa_exception_fp_ieee_overflow 0
		.amdhsa_exception_fp_ieee_underflow 0
		.amdhsa_exception_fp_ieee_inexact 0
		.amdhsa_exception_int_div_zero 0
	.end_amdhsa_kernel
	.text
.Lfunc_end0:
	.size	bluestein_single_fwd_len442_dim1_dp_op_CI_CI, .Lfunc_end0-bluestein_single_fwd_len442_dim1_dp_op_CI_CI
                                        ; -- End function
	.section	.AMDGPU.csdata,"",@progbits
; Kernel info:
; codeLenInByte = 26912
; NumSgprs: 62
; NumVgprs: 256
; ScratchSize: 408
; MemoryBound: 0
; FloatMode: 240
; IeeeMode: 1
; LDSByteSize: 49504 bytes/workgroup (compile time only)
; SGPRBlocks: 7
; VGPRBlocks: 31
; NumSGPRsForWavesPerEU: 62
; NumVGPRsForWavesPerEU: 256
; Occupancy: 4
; WaveLimiterHint : 1
; COMPUTE_PGM_RSRC2:SCRATCH_EN: 1
; COMPUTE_PGM_RSRC2:USER_SGPR: 2
; COMPUTE_PGM_RSRC2:TRAP_HANDLER: 0
; COMPUTE_PGM_RSRC2:TGID_X_EN: 1
; COMPUTE_PGM_RSRC2:TGID_Y_EN: 0
; COMPUTE_PGM_RSRC2:TGID_Z_EN: 0
; COMPUTE_PGM_RSRC2:TIDIG_COMP_CNT: 0
	.text
	.p2alignl 7, 3214868480
	.fill 96, 4, 3214868480
	.type	__hip_cuid_d581b4c9dd3f6c48,@object ; @__hip_cuid_d581b4c9dd3f6c48
	.section	.bss,"aw",@nobits
	.globl	__hip_cuid_d581b4c9dd3f6c48
__hip_cuid_d581b4c9dd3f6c48:
	.byte	0                               ; 0x0
	.size	__hip_cuid_d581b4c9dd3f6c48, 1

	.ident	"AMD clang version 19.0.0git (https://github.com/RadeonOpenCompute/llvm-project roc-6.4.0 25133 c7fe45cf4b819c5991fe208aaa96edf142730f1d)"
	.section	".note.GNU-stack","",@progbits
	.addrsig
	.addrsig_sym __hip_cuid_d581b4c9dd3f6c48
	.amdgpu_metadata
---
amdhsa.kernels:
  - .args:
      - .actual_access:  read_only
        .address_space:  global
        .offset:         0
        .size:           8
        .value_kind:     global_buffer
      - .actual_access:  read_only
        .address_space:  global
        .offset:         8
        .size:           8
        .value_kind:     global_buffer
      - .actual_access:  read_only
        .address_space:  global
        .offset:         16
        .size:           8
        .value_kind:     global_buffer
      - .actual_access:  read_only
        .address_space:  global
        .offset:         24
        .size:           8
        .value_kind:     global_buffer
      - .actual_access:  read_only
        .address_space:  global
        .offset:         32
        .size:           8
        .value_kind:     global_buffer
      - .offset:         40
        .size:           8
        .value_kind:     by_value
      - .address_space:  global
        .offset:         48
        .size:           8
        .value_kind:     global_buffer
      - .address_space:  global
        .offset:         56
        .size:           8
        .value_kind:     global_buffer
      - .address_space:  global
        .offset:         64
        .size:           8
        .value_kind:     global_buffer
      - .address_space:  global
        .offset:         72
        .size:           8
        .value_kind:     global_buffer
      - .offset:         80
        .size:           4
        .value_kind:     by_value
      - .address_space:  global
        .offset:         88
        .size:           8
        .value_kind:     global_buffer
      - .address_space:  global
        .offset:         96
        .size:           8
        .value_kind:     global_buffer
    .group_segment_fixed_size: 49504
    .kernarg_segment_align: 8
    .kernarg_segment_size: 104
    .language:       OpenCL C
    .language_version:
      - 2
      - 0
    .max_flat_workgroup_size: 238
    .name:           bluestein_single_fwd_len442_dim1_dp_op_CI_CI
    .private_segment_fixed_size: 408
    .sgpr_count:     62
    .sgpr_spill_count: 0
    .symbol:         bluestein_single_fwd_len442_dim1_dp_op_CI_CI.kd
    .uniform_work_group_size: 1
    .uses_dynamic_stack: false
    .vgpr_count:     256
    .vgpr_spill_count: 178
    .wavefront_size: 32
    .workgroup_processor_mode: 1
amdhsa.target:   amdgcn-amd-amdhsa--gfx1201
amdhsa.version:
  - 1
  - 2
...

	.end_amdgpu_metadata
